;; amdgpu-corpus repo=ROCm/rocFFT kind=compiled arch=gfx1201 opt=O3
	.text
	.amdgcn_target "amdgcn-amd-amdhsa--gfx1201"
	.amdhsa_code_object_version 6
	.protected	bluestein_single_fwd_len546_dim1_dp_op_CI_CI ; -- Begin function bluestein_single_fwd_len546_dim1_dp_op_CI_CI
	.globl	bluestein_single_fwd_len546_dim1_dp_op_CI_CI
	.p2align	8
	.type	bluestein_single_fwd_len546_dim1_dp_op_CI_CI,@function
bluestein_single_fwd_len546_dim1_dp_op_CI_CI: ; @bluestein_single_fwd_len546_dim1_dp_op_CI_CI
; %bb.0:
	s_load_b128 s[12:15], s[0:1], 0x28
	v_mul_u32_u24_e32 v1, 0x691, v0
	s_mov_b32 s2, exec_lo
	s_delay_alu instid0(VALU_DEP_1) | instskip(NEXT) | instid1(VALU_DEP_1)
	v_lshrrev_b32_e32 v1, 16, v1
	v_mad_co_u64_u32 v[250:251], null, ttmp9, 3, v[1:2]
	v_mov_b32_e32 v251, 0
                                        ; kill: def $vgpr2 killed $sgpr0 killed $exec
	s_wait_kmcnt 0x0
	s_delay_alu instid0(VALU_DEP_1)
	v_cmpx_gt_u64_e64 s[12:13], v[250:251]
	s_cbranch_execz .LBB0_23
; %bb.1:
	s_clause 0x1
	s_load_b128 s[4:7], s[0:1], 0x18
	s_load_b64 s[12:13], s[0:1], 0x0
	v_mul_lo_u16 v1, v1, 39
	s_delay_alu instid0(VALU_DEP_1)
	v_sub_nc_u16 v2, v0, v1
	s_wait_kmcnt 0x0
	s_load_b128 s[8:11], s[4:5], 0x0
	s_wait_kmcnt 0x0
	v_mad_co_u64_u32 v[0:1], null, s10, v250, 0
	s_mul_u64 s[2:3], s[8:9], 42
	s_delay_alu instid0(VALU_DEP_1) | instskip(NEXT) | instid1(VALU_DEP_1)
	v_mad_co_u64_u32 v[5:6], null, s11, v250, v[1:2]
	v_dual_mov_b32 v1, v5 :: v_dual_and_b32 v8, 0xffff, v2
	s_delay_alu instid0(VALU_DEP_1)
	v_mad_co_u64_u32 v[3:4], null, s8, v8, 0
	scratch_store_b32 off, v8, off          ; 4-byte Folded Spill
	v_lshlrev_b32_e32 v196, 4, v8
	v_lshlrev_b64_e32 v[0:1], 4, v[0:1]
	s_clause 0x1
	global_load_b128 v[112:115], v196, s[12:13]
	global_load_b128 v[116:119], v196, s[12:13] offset:672
	v_mad_co_u64_u32 v[6:7], null, s9, v8, v[4:5]
	v_add_co_u32 v0, vcc_lo, s14, v0
	v_add_co_ci_u32_e32 v1, vcc_lo, s15, v1, vcc_lo
	s_lshl_b64 s[14:15], s[2:3], 4
	s_clause 0x3
	global_load_b128 v[120:123], v196, s[12:13] offset:1344
	global_load_b128 v[124:127], v196, s[12:13] offset:2016
	;; [unrolled: 1-line block ×4, first 2 shown]
	v_mov_b32_e32 v4, v6
	s_clause 0x3
	global_load_b128 v[136:139], v196, s[12:13] offset:4032
	global_load_b128 v[140:143], v196, s[12:13] offset:4704
	;; [unrolled: 1-line block ×4, first 2 shown]
	v_add_co_u32 v248, s2, s12, v196
	v_lshlrev_b64_e32 v[3:4], 4, v[3:4]
	v_add_co_ci_u32_e64 v249, null, s13, 0, s2
	s_delay_alu instid0(VALU_DEP_2) | instskip(SKIP_1) | instid1(VALU_DEP_3)
	v_add_co_u32 v0, vcc_lo, v0, v3
	s_wait_alu 0xfffd
	v_add_co_ci_u32_e32 v1, vcc_lo, v1, v4, vcc_lo
	s_wait_alu 0xfffe
	s_delay_alu instid0(VALU_DEP_2) | instskip(SKIP_1) | instid1(VALU_DEP_2)
	v_add_co_u32 v7, vcc_lo, v0, s14
	s_wait_alu 0xfffd
	v_add_co_ci_u32_e32 v8, vcc_lo, s15, v1, vcc_lo
	s_delay_alu instid0(VALU_DEP_2) | instskip(SKIP_1) | instid1(VALU_DEP_2)
	v_add_co_u32 v11, vcc_lo, v7, s14
	s_wait_alu 0xfffd
	v_add_co_ci_u32_e32 v12, vcc_lo, s15, v8, vcc_lo
	s_clause 0x1
	global_load_b128 v[3:6], v[0:1], off
	global_load_b128 v[7:10], v[7:8], off
	v_add_co_u32 v15, vcc_lo, v11, s14
	s_wait_alu 0xfffd
	v_add_co_ci_u32_e32 v16, vcc_lo, s15, v12, vcc_lo
	s_delay_alu instid0(VALU_DEP_2) | instskip(SKIP_1) | instid1(VALU_DEP_2)
	v_add_co_u32 v0, vcc_lo, v15, s14
	s_wait_alu 0xfffd
	v_add_co_ci_u32_e32 v1, vcc_lo, s15, v16, vcc_lo
	s_clause 0x1
	global_load_b128 v[11:14], v[11:12], off
	global_load_b128 v[15:18], v[15:16], off
	v_add_co_u32 v23, vcc_lo, v0, s14
	s_wait_alu 0xfffd
	v_add_co_ci_u32_e32 v24, vcc_lo, s15, v1, vcc_lo
	global_load_b128 v[19:22], v[0:1], off
	v_add_co_u32 v0, vcc_lo, v23, s14
	s_wait_alu 0xfffd
	v_add_co_ci_u32_e32 v1, vcc_lo, s15, v24, vcc_lo
	;; [unrolled: 4-line block ×8, first 2 shown]
	s_clause 0x1
	global_load_b128 v[156:159], v196, s[12:13] offset:6720
	global_load_b128 v[152:155], v196, s[12:13] offset:7392
	global_load_b128 v[52:55], v[47:48], off
	global_load_b128 v[48:51], v196, s[12:13] offset:8064
	global_load_b128 v[56:59], v[0:1], off
	v_mul_hi_u32 v47, 0xaaaaaaab, v250
	v_cmp_gt_u16_e32 vcc_lo, 3, v2
	s_delay_alu instid0(VALU_DEP_2) | instskip(NEXT) | instid1(VALU_DEP_1)
	v_lshrrev_b32_e32 v47, 1, v47
	v_lshl_add_u32 v47, v47, 1, v47
	s_delay_alu instid0(VALU_DEP_1) | instskip(NEXT) | instid1(VALU_DEP_1)
	v_sub_nc_u32_e32 v47, v250, v47
	v_mul_u32_u24_e32 v47, 0x222, v47
	s_delay_alu instid0(VALU_DEP_1) | instskip(NEXT) | instid1(VALU_DEP_1)
	v_lshlrev_b32_e32 v219, 4, v47
	v_add_nc_u32_e32 v255, v196, v219
	s_wait_loadcnt 0x19
	scratch_store_b128 off, v[112:115], off offset:8 ; 16-byte Folded Spill
	s_wait_loadcnt 0x18
	scratch_store_b128 off, v[116:119], off offset:24 ; 16-byte Folded Spill
	;; [unrolled: 2-line block ×10, first 2 shown]
	s_wait_loadcnt 0xf
	v_mul_f64_e32 v[60:61], v[5:6], v[114:115]
	v_mul_f64_e32 v[62:63], v[3:4], v[114:115]
	s_wait_loadcnt 0xe
	v_mul_f64_e32 v[64:65], v[9:10], v[118:119]
	v_mul_f64_e32 v[66:67], v[7:8], v[118:119]
	s_wait_loadcnt 0xd
	v_mul_f64_e32 v[68:69], v[13:14], v[122:123]
	v_mul_f64_e32 v[70:71], v[11:12], v[122:123]
	s_wait_loadcnt 0xc
	v_mul_f64_e32 v[72:73], v[17:18], v[126:127]
	v_mul_f64_e32 v[74:75], v[15:16], v[126:127]
	s_wait_loadcnt 0xb
	v_mul_f64_e32 v[76:77], v[21:22], v[130:131]
	v_mul_f64_e32 v[78:79], v[19:20], v[130:131]
	s_wait_loadcnt 0xa
	v_mul_f64_e32 v[80:81], v[25:26], v[134:135]
	v_mul_f64_e32 v[82:83], v[23:24], v[134:135]
	s_wait_loadcnt 0x9
	v_mul_f64_e32 v[84:85], v[29:30], v[138:139]
	v_mul_f64_e32 v[86:87], v[27:28], v[138:139]
	s_wait_loadcnt 0x8
	v_mul_f64_e32 v[88:89], v[33:34], v[142:143]
	v_mul_f64_e32 v[90:91], v[31:32], v[142:143]
	s_wait_loadcnt 0x7
	v_mul_f64_e32 v[92:93], v[37:38], v[146:147]
	v_mul_f64_e32 v[94:95], v[35:36], v[146:147]
	v_fma_f64 v[3:4], v[3:4], v[112:113], v[60:61]
	v_fma_f64 v[5:6], v[5:6], v[112:113], -v[62:63]
	v_fma_f64 v[7:8], v[7:8], v[116:117], v[64:65]
	s_wait_loadcnt 0x6
	v_mul_f64_e32 v[96:97], v[41:42], v[150:151]
	v_mul_f64_e32 v[98:99], v[39:40], v[150:151]
	v_fma_f64 v[9:10], v[9:10], v[116:117], -v[66:67]
	s_wait_loadcnt 0x4
	v_mul_f64_e32 v[100:101], v[45:46], v[158:159]
	v_mul_f64_e32 v[102:103], v[43:44], v[158:159]
	s_wait_loadcnt 0x2
	v_mul_f64_e32 v[104:105], v[54:55], v[154:155]
	v_mul_f64_e32 v[106:107], v[52:53], v[154:155]
	;; [unrolled: 3-line block ×3, first 2 shown]
	v_fma_f64 v[11:12], v[11:12], v[120:121], v[68:69]
	v_fma_f64 v[13:14], v[13:14], v[120:121], -v[70:71]
	v_fma_f64 v[15:16], v[15:16], v[124:125], v[72:73]
	v_fma_f64 v[17:18], v[17:18], v[124:125], -v[74:75]
	;; [unrolled: 2-line block ×4, first 2 shown]
	s_clause 0x2
	scratch_store_b128 off, v[156:159], off offset:184
	scratch_store_b128 off, v[152:155], off offset:168
	;; [unrolled: 1-line block ×3, first 2 shown]
	v_fma_f64 v[27:28], v[27:28], v[136:137], v[84:85]
	v_fma_f64 v[29:30], v[29:30], v[136:137], -v[86:87]
	s_load_b64 s[10:11], s[0:1], 0x38
	s_load_b128 s[4:7], s[6:7], 0x0
	v_fma_f64 v[31:32], v[31:32], v[140:141], v[88:89]
	v_fma_f64 v[33:34], v[33:34], v[140:141], -v[90:91]
	ds_store_b128 v255, v[3:6]
	ds_store_b128 v255, v[7:10] offset:672
	ds_store_b128 v255, v[11:14] offset:1344
	;; [unrolled: 1-line block ×7, first 2 shown]
	v_fma_f64 v[35:36], v[35:36], v[144:145], v[92:93]
	v_fma_f64 v[37:38], v[37:38], v[144:145], -v[94:95]
	v_fma_f64 v[39:40], v[39:40], v[148:149], v[96:97]
	v_fma_f64 v[41:42], v[41:42], v[148:149], -v[98:99]
	;; [unrolled: 2-line block ×5, first 2 shown]
	ds_store_b128 v255, v[35:38] offset:5376
	ds_store_b128 v255, v[39:42] offset:6048
	;; [unrolled: 1-line block ×5, first 2 shown]
	s_and_saveexec_b32 s3, vcc_lo
	s_cbranch_execz .LBB0_3
; %bb.2:
	v_mad_co_u64_u32 v[32:33], null, 0xffffe2f0, s8, v[0:1]
	s_mul_i32 s2, s9, 0xffffe2f0
	s_clause 0x1
	global_load_b128 v[0:3], v[248:249], off offset:624
	global_load_b128 v[4:7], v[248:249], off offset:1296
	s_wait_alu 0xfffe
	s_sub_co_i32 s2, s2, s8
	s_clause 0x5
	global_load_b128 v[8:11], v[248:249], off offset:1968
	global_load_b128 v[12:15], v[248:249], off offset:2640
	;; [unrolled: 1-line block ×6, first 2 shown]
	s_wait_alu 0xfffe
	v_add_nc_u32_e32 v33, s2, v33
	v_add_co_u32 v36, s2, v32, s14
	s_wait_alu 0xf1ff
	s_delay_alu instid0(VALU_DEP_2) | instskip(NEXT) | instid1(VALU_DEP_2)
	v_add_co_ci_u32_e64 v37, s2, s15, v33, s2
	v_add_co_u32 v40, s2, v36, s14
	global_load_b128 v[32:35], v[32:33], off
	s_wait_alu 0xf1ff
	v_add_co_ci_u32_e64 v41, s2, s15, v37, s2
	v_add_co_u32 v44, s2, v40, s14
	global_load_b128 v[36:39], v[36:37], off
	s_wait_alu 0xf1ff
	;; [unrolled: 4-line block ×5, first 2 shown]
	v_add_co_ci_u32_e64 v61, s2, s15, v57, s2
	v_add_co_u32 v64, s2, v60, s14
	s_wait_alu 0xf1ff
	s_delay_alu instid0(VALU_DEP_2) | instskip(NEXT) | instid1(VALU_DEP_2)
	v_add_co_ci_u32_e64 v65, s2, s15, v61, s2
	v_add_co_u32 v68, s2, v64, s14
	s_wait_alu 0xf1ff
	s_delay_alu instid0(VALU_DEP_2) | instskip(NEXT) | instid1(VALU_DEP_2)
	;; [unrolled: 4-line block ×3, first 2 shown]
	v_add_co_ci_u32_e64 v77, s2, s15, v69, s2
	v_add_co_u32 v84, s2, v76, s14
	global_load_b128 v[56:59], v[56:57], off
	global_load_b128 v[60:63], v[60:61], off
	global_load_b128 v[64:67], v[64:65], off
	global_load_b128 v[68:71], v[68:69], off
	global_load_b128 v[72:75], v[76:77], off
	s_wait_alu 0xf1ff
	v_add_co_ci_u32_e64 v85, s2, s15, v77, s2
	v_add_co_u32 v92, s2, v84, s14
	s_clause 0x1
	global_load_b128 v[76:79], v[248:249], off offset:6000
	global_load_b128 v[80:83], v[248:249], off offset:6672
	s_wait_alu 0xf1ff
	v_add_co_ci_u32_e64 v93, s2, s15, v85, s2
	v_add_co_u32 v104, s2, v92, s14
	global_load_b128 v[84:87], v[84:85], off
	s_wait_alu 0xf1ff
	v_add_co_ci_u32_e64 v105, s2, s15, v93, s2
	global_load_b128 v[88:91], v[248:249], off offset:7344
	global_load_b128 v[92:95], v[92:93], off
	s_clause 0x1
	global_load_b128 v[96:99], v[248:249], off offset:8016
	global_load_b128 v[100:103], v[248:249], off offset:8688
	global_load_b128 v[104:107], v[104:105], off
	s_wait_loadcnt 0x11
	v_mul_f64_e32 v[108:109], v[34:35], v[2:3]
	v_mul_f64_e32 v[2:3], v[32:33], v[2:3]
	s_wait_loadcnt 0x10
	v_mul_f64_e32 v[110:111], v[38:39], v[6:7]
	v_mul_f64_e32 v[6:7], v[36:37], v[6:7]
	;; [unrolled: 3-line block ×8, first 2 shown]
	v_fma_f64 v[30:31], v[32:33], v[0:1], v[108:109]
	v_fma_f64 v[32:33], v[34:35], v[0:1], -v[2:3]
	s_wait_loadcnt 0x7
	v_mul_f64_e32 v[126:127], v[70:71], v[78:79]
	v_mul_f64_e32 v[78:79], v[68:69], v[78:79]
	s_wait_loadcnt 0x6
	v_mul_f64_e32 v[128:129], v[74:75], v[82:83]
	v_mul_f64_e32 v[82:83], v[72:73], v[82:83]
	v_fma_f64 v[0:1], v[36:37], v[4:5], v[110:111]
	v_fma_f64 v[2:3], v[38:39], v[4:5], -v[6:7]
	s_wait_loadcnt 0x4
	v_mul_f64_e32 v[130:131], v[86:87], v[90:91]
	v_mul_f64_e32 v[90:91], v[84:85], v[90:91]
	s_wait_loadcnt 0x2
	v_mul_f64_e32 v[132:133], v[94:95], v[98:99]
	v_mul_f64_e32 v[98:99], v[92:93], v[98:99]
	;; [unrolled: 3-line block ×3, first 2 shown]
	v_fma_f64 v[4:5], v[40:41], v[8:9], v[112:113]
	v_fma_f64 v[6:7], v[42:43], v[8:9], -v[10:11]
	v_fma_f64 v[8:9], v[44:45], v[12:13], v[114:115]
	v_fma_f64 v[10:11], v[46:47], v[12:13], -v[14:15]
	;; [unrolled: 2-line block ×11, first 2 shown]
	ds_store_b128 v255, v[30:33] offset:624
	ds_store_b128 v255, v[0:3] offset:1296
	;; [unrolled: 1-line block ×13, first 2 shown]
.LBB0_3:
	s_wait_alu 0xfffe
	s_or_b32 exec_lo, exec_lo, s3
	global_wb scope:SCOPE_SE
	s_wait_storecnt_dscnt 0x0
	s_wait_kmcnt 0x0
	s_barrier_signal -1
	s_barrier_wait -1
	global_inv scope:SCOPE_SE
	ds_load_b128 v[56:59], v255
	ds_load_b128 v[112:115], v255 offset:672
	ds_load_b128 v[120:123], v255 offset:1344
	;; [unrolled: 1-line block ×12, first 2 shown]
                                        ; implicit-def: $vgpr52_vgpr53
                                        ; implicit-def: $vgpr60_vgpr61
                                        ; implicit-def: $vgpr64_vgpr65
                                        ; implicit-def: $vgpr72_vgpr73
                                        ; implicit-def: $vgpr76_vgpr77
                                        ; implicit-def: $vgpr80_vgpr81
                                        ; implicit-def: $vgpr84_vgpr85
                                        ; implicit-def: $vgpr88_vgpr89
                                        ; implicit-def: $vgpr92_vgpr93
                                        ; implicit-def: $vgpr96_vgpr97
                                        ; implicit-def: $vgpr100_vgpr101
                                        ; implicit-def: $vgpr104_vgpr105
                                        ; implicit-def: $vgpr68_vgpr69
	s_and_saveexec_b32 s2, vcc_lo
	s_cbranch_execz .LBB0_5
; %bb.4:
	ds_load_b128 v[52:55], v255 offset:624
	ds_load_b128 v[60:63], v255 offset:1296
	ds_load_b128 v[64:67], v255 offset:1968
	ds_load_b128 v[72:75], v255 offset:2640
	ds_load_b128 v[76:79], v255 offset:3312
	ds_load_b128 v[80:83], v255 offset:3984
	ds_load_b128 v[84:87], v255 offset:4656
	ds_load_b128 v[88:91], v255 offset:5328
	ds_load_b128 v[92:95], v255 offset:6000
	ds_load_b128 v[96:99], v255 offset:6672
	ds_load_b128 v[100:103], v255 offset:7344
	ds_load_b128 v[104:107], v255 offset:8016
	ds_load_b128 v[68:71], v255 offset:8688
.LBB0_5:
	s_wait_alu 0xfffe
	s_or_b32 exec_lo, exec_lo, s2
	s_wait_dscnt 0xb
	v_add_f64_e32 v[0:1], v[56:57], v[112:113]
	v_add_f64_e32 v[2:3], v[58:59], v[114:115]
	s_wait_dscnt 0x0
	v_add_f64_e32 v[36:37], v[112:113], v[108:109]
	v_add_f64_e32 v[24:25], v[114:115], v[110:111]
	v_add_f64_e64 v[34:35], v[112:113], -v[108:109]
	v_add_f64_e64 v[112:113], v[114:115], -v[110:111]
	s_mov_b32 s36, 0x4267c47c
	s_mov_b32 s26, 0x42a4c3d2
	;; [unrolled: 1-line block ×12, first 2 shown]
	v_add_f64_e64 v[32:33], v[78:79], -v[98:99]
	v_add_f64_e64 v[30:31], v[76:77], -v[96:97]
	;; [unrolled: 1-line block ×3, first 2 shown]
	v_add_f64_e32 v[44:45], v[60:61], v[68:69]
	v_add_f64_e32 v[46:47], v[62:63], v[70:71]
	s_mov_b32 s16, 0xe00740e9
	s_mov_b32 s14, 0x1ea71119
	;; [unrolled: 1-line block ×12, first 2 shown]
	v_add_f64_e32 v[4:5], v[84:85], v[88:89]
	v_add_f64_e32 v[6:7], v[86:87], v[90:91]
	v_add_f64_e64 v[22:23], v[82:83], -v[94:95]
	v_add_f64_e32 v[0:1], v[0:1], v[120:121]
	v_add_f64_e32 v[2:3], v[2:3], v[122:123]
	v_add_f64_e64 v[20:21], v[80:81], -v[92:93]
	v_add_f64_e32 v[156:157], v[152:153], v[148:149]
	v_add_f64_e32 v[158:159], v[154:155], v[150:151]
	s_mov_b32 s39, 0x3fe5384d
	s_mov_b32 s38, s22
	;; [unrolled: 1-line block ×10, first 2 shown]
	v_add_f64_e32 v[0:1], v[0:1], v[128:129]
	v_add_f64_e32 v[2:3], v[2:3], v[130:131]
	s_delay_alu instid0(VALU_DEP_2) | instskip(NEXT) | instid1(VALU_DEP_2)
	v_add_f64_e32 v[0:1], v[0:1], v[136:137]
	v_add_f64_e32 v[2:3], v[2:3], v[138:139]
	s_delay_alu instid0(VALU_DEP_2) | instskip(NEXT) | instid1(VALU_DEP_2)
	;; [unrolled: 3-line block ×3, first 2 shown]
	v_add_f64_e32 v[0:1], v[0:1], v[152:153]
	v_add_f64_e32 v[2:3], v[2:3], v[154:155]
	v_add_f64_e64 v[152:153], v[152:153], -v[148:149]
	v_add_f64_e64 v[154:155], v[154:155], -v[150:151]
	s_delay_alu instid0(VALU_DEP_4) | instskip(NEXT) | instid1(VALU_DEP_4)
	v_add_f64_e32 v[0:1], v[0:1], v[148:149]
	v_add_f64_e32 v[2:3], v[2:3], v[150:151]
	v_add_f64_e32 v[148:149], v[144:145], v[140:141]
	v_add_f64_e64 v[144:145], v[144:145], -v[140:141]
	v_add_f64_e32 v[150:151], v[146:147], v[142:143]
	v_add_f64_e64 v[146:147], v[146:147], -v[142:143]
	v_add_f64_e32 v[0:1], v[0:1], v[140:141]
	v_add_f64_e32 v[2:3], v[2:3], v[142:143]
	v_add_f64_e32 v[140:141], v[136:137], v[132:133]
	v_add_f64_e64 v[136:137], v[136:137], -v[132:133]
	v_add_f64_e32 v[142:143], v[138:139], v[134:135]
	v_add_f64_e64 v[138:139], v[138:139], -v[134:135]
	;; [unrolled: 6-line block ×4, first 2 shown]
	v_add_f64_e32 v[0:1], v[0:1], v[116:117]
	v_add_f64_e32 v[2:3], v[2:3], v[118:119]
	s_delay_alu instid0(VALU_DEP_2) | instskip(NEXT) | instid1(VALU_DEP_2)
	v_add_f64_e32 v[108:109], v[0:1], v[108:109]
	v_add_f64_e32 v[110:111], v[2:3], v[110:111]
	;; [unrolled: 1-line block ×4, first 2 shown]
	v_add_f64_e64 v[60:61], v[60:61], -v[68:69]
	v_add_f64_e64 v[62:63], v[62:63], -v[70:71]
	s_delay_alu instid0(VALU_DEP_4) | instskip(NEXT) | instid1(VALU_DEP_4)
	v_add_f64_e32 v[0:1], v[0:1], v[64:65]
	v_add_f64_e32 v[2:3], v[2:3], v[66:67]
	s_delay_alu instid0(VALU_DEP_4) | instskip(NEXT) | instid1(VALU_DEP_3)
	v_mul_f64_e32 v[180:181], s[22:23], v[60:61]
	v_add_f64_e32 v[0:1], v[0:1], v[72:73]
	s_delay_alu instid0(VALU_DEP_3) | instskip(NEXT) | instid1(VALU_DEP_3)
	v_add_f64_e32 v[2:3], v[2:3], v[74:75]
	v_fma_f64 v[190:191], v[46:47], s[18:19], v[180:181]
	v_fma_f64 v[180:181], v[46:47], s[18:19], -v[180:181]
	s_delay_alu instid0(VALU_DEP_4) | instskip(NEXT) | instid1(VALU_DEP_4)
	v_add_f64_e32 v[0:1], v[0:1], v[76:77]
	v_add_f64_e32 v[2:3], v[2:3], v[78:79]
	s_delay_alu instid0(VALU_DEP_2) | instskip(NEXT) | instid1(VALU_DEP_2)
	v_add_f64_e32 v[0:1], v[0:1], v[80:81]
	v_add_f64_e32 v[2:3], v[2:3], v[82:83]
	s_delay_alu instid0(VALU_DEP_2) | instskip(NEXT) | instid1(VALU_DEP_2)
	v_add_f64_e32 v[8:9], v[0:1], v[84:85]
	v_add_f64_e32 v[10:11], v[2:3], v[86:87]
	v_add_f64_e64 v[2:3], v[86:87], -v[90:91]
	v_add_f64_e64 v[0:1], v[84:85], -v[88:89]
	s_delay_alu instid0(VALU_DEP_4) | instskip(NEXT) | instid1(VALU_DEP_4)
	v_add_f64_e32 v[12:13], v[8:9], v[88:89]
	v_add_f64_e32 v[14:15], v[10:11], v[90:91]
	;; [unrolled: 1-line block ×4, first 2 shown]
	v_mul_f64_e32 v[90:91], s[26:27], v[34:35]
	v_add_f64_e32 v[16:17], v[12:13], v[92:93]
	v_add_f64_e32 v[18:19], v[14:15], v[94:95]
	;; [unrolled: 1-line block ×4, first 2 shown]
	v_add_f64_e64 v[76:77], v[74:75], -v[102:103]
	v_mul_f64_e32 v[92:93], s[28:29], v[34:35]
	v_mul_f64_e32 v[94:95], s[20:21], v[34:35]
	v_add_f64_e32 v[26:27], v[16:17], v[96:97]
	v_add_f64_e32 v[28:29], v[18:19], v[98:99]
	;; [unrolled: 1-line block ×4, first 2 shown]
	v_add_f64_e64 v[74:75], v[66:67], -v[106:107]
	v_add_f64_e64 v[72:73], v[64:65], -v[104:105]
	v_add_f64_e32 v[40:41], v[26:27], v[100:101]
	v_add_f64_e32 v[42:43], v[28:29], v[102:103]
	;; [unrolled: 1-line block ×4, first 2 shown]
	v_mul_f64_e32 v[64:65], s[28:29], v[112:113]
	v_mul_f64_e32 v[66:67], s[20:21], v[112:113]
	;; [unrolled: 1-line block ×3, first 2 shown]
	v_add_f64_e32 v[40:41], v[40:41], v[104:105]
	v_add_f64_e32 v[42:43], v[42:43], v[106:107]
	s_wait_alu 0xfffe
	v_fma_f64 v[104:105], v[24:25], s[14:15], v[90:91]
	v_fma_f64 v[90:91], v[24:25], s[14:15], -v[90:91]
	v_fma_f64 v[82:83], v[36:37], s[2:3], -v[64:65]
	v_fma_f64 v[64:65], v[36:37], s[2:3], v[64:65]
	v_fma_f64 v[84:85], v[36:37], s[8:9], -v[66:67]
	v_fma_f64 v[66:67], v[36:37], s[8:9], v[66:67]
	v_fma_f64 v[106:107], v[24:25], s[2:3], v[92:93]
	v_fma_f64 v[92:93], v[24:25], s[2:3], -v[92:93]
	v_fma_f64 v[114:115], v[24:25], s[18:19], v[100:101]
	v_fma_f64 v[100:101], v[24:25], s[18:19], -v[100:101]
	v_add_f64_e32 v[96:97], v[40:41], v[68:69]
	v_add_f64_e32 v[98:99], v[42:43], v[70:71]
	v_mul_f64_e32 v[40:41], s[36:37], v[112:113]
	v_mul_f64_e32 v[42:43], s[26:27], v[112:113]
	;; [unrolled: 1-line block ×4, first 2 shown]
	v_fma_f64 v[112:113], v[24:25], s[8:9], v[94:95]
	v_fma_f64 v[94:95], v[24:25], s[8:9], -v[94:95]
	v_add_f64_e32 v[82:83], v[56:57], v[82:83]
	v_add_f64_e32 v[64:65], v[56:57], v[64:65]
	;; [unrolled: 1-line block ×10, first 2 shown]
	v_mul_f64_e32 v[92:93], s[28:29], v[60:61]
	v_fma_f64 v[78:79], v[36:37], s[16:17], -v[40:41]
	v_fma_f64 v[40:41], v[36:37], s[16:17], v[40:41]
	v_fma_f64 v[80:81], v[36:37], s[14:15], -v[42:43]
	v_fma_f64 v[42:43], v[36:37], s[14:15], v[42:43]
	;; [unrolled: 2-line block ×4, first 2 shown]
	v_mul_f64_e32 v[70:71], s[36:37], v[34:35]
	v_mul_f64_e32 v[34:35], s[30:31], v[34:35]
	v_add_f64_e32 v[112:113], v[58:59], v[112:113]
	v_add_f64_e32 v[168:169], v[58:59], v[94:95]
	v_mul_f64_e32 v[94:95], s[20:21], v[60:61]
	v_fma_f64 v[186:187], v[46:47], s[2:3], v[92:93]
	v_fma_f64 v[92:93], v[46:47], s[2:3], -v[92:93]
	v_add_f64_e32 v[118:119], v[56:57], v[78:79]
	v_add_f64_e32 v[160:161], v[56:57], v[40:41]
	;; [unrolled: 1-line block ×8, first 2 shown]
	v_fma_f64 v[102:103], v[24:25], s[16:17], v[70:71]
	v_fma_f64 v[70:71], v[24:25], s[16:17], -v[70:71]
	v_fma_f64 v[116:117], v[24:25], s[24:25], v[34:35]
	v_fma_f64 v[24:25], v[24:25], s[24:25], -v[34:35]
	v_mul_f64_e32 v[34:35], s[26:27], v[62:63]
	v_mul_f64_e32 v[36:37], s[28:29], v[62:63]
	;; [unrolled: 1-line block ×6, first 2 shown]
	v_fma_f64 v[188:189], v[46:47], s[8:9], v[94:95]
	v_fma_f64 v[94:95], v[46:47], s[8:9], -v[94:95]
	v_add_f64_e32 v[186:187], v[54:55], v[186:187]
	v_add_f64_e32 v[211:212], v[54:55], v[92:93]
	;; [unrolled: 1-line block ×6, first 2 shown]
	v_mul_f64_e32 v[24:25], s[36:37], v[62:63]
	v_fma_f64 v[62:63], v[44:45], s[14:15], -v[34:35]
	v_fma_f64 v[34:35], v[44:45], s[14:15], v[34:35]
	v_fma_f64 v[66:67], v[44:45], s[2:3], -v[36:37]
	v_fma_f64 v[36:37], v[44:45], s[2:3], v[36:37]
	;; [unrolled: 2-line block ×5, first 2 shown]
	v_fma_f64 v[184:185], v[46:47], s[14:15], v[88:89]
	v_fma_f64 v[88:89], v[46:47], s[14:15], -v[88:89]
	v_add_f64_e32 v[188:189], v[54:55], v[188:189]
	v_add_f64_e32 v[217:218], v[54:55], v[94:95]
	v_fma_f64 v[58:59], v[44:45], s[16:17], -v[24:25]
	v_fma_f64 v[24:25], v[44:45], s[16:17], v[24:25]
	v_mul_f64_e32 v[44:45], s[36:37], v[60:61]
	v_mul_f64_e32 v[60:61], s[30:31], v[60:61]
	v_add_f64_e32 v[201:202], v[52:53], v[62:63]
	v_add_f64_e32 v[203:204], v[52:53], v[34:35]
	;; [unrolled: 1-line block ×10, first 2 shown]
	s_mov_b32 s37, 0x3fddbe06
	v_add_f64_e32 v[194:195], v[52:53], v[58:59]
	v_add_f64_e32 v[197:198], v[52:53], v[24:25]
	v_fma_f64 v[182:183], v[46:47], s[16:17], v[44:45]
	v_fma_f64 v[44:45], v[46:47], s[16:17], -v[44:45]
	v_fma_f64 v[192:193], v[46:47], s[24:25], v[60:61]
	v_fma_f64 v[60:61], v[46:47], s[24:25], -v[60:61]
	v_add_f64_e32 v[24:25], v[52:53], v[56:57]
	v_mul_f64_e32 v[56:57], s[26:27], v[122:123]
	v_mul_f64_e32 v[58:59], s[26:27], v[120:121]
	v_add_f64_e32 v[46:47], v[54:55], v[190:191]
	v_add_f64_e32 v[182:183], v[54:55], v[182:183]
	;; [unrolled: 1-line block ×5, first 2 shown]
	v_mul_f64_e32 v[60:61], s[28:29], v[130:131]
	v_fma_f64 v[52:53], v[124:125], s[14:15], -v[56:57]
	v_add_f64_e32 v[42:43], v[54:55], v[180:181]
	v_add_f64_e32 v[36:37], v[54:55], v[192:193]
	v_fma_f64 v[54:55], v[126:127], s[14:15], v[58:59]
	v_fma_f64 v[56:57], v[124:125], s[14:15], v[56:57]
	v_fma_f64 v[58:59], v[126:127], s[14:15], -v[58:59]
	v_fma_f64 v[62:63], v[132:133], s[2:3], -v[60:61]
	v_add_f64_e32 v[52:53], v[52:53], v[118:119]
	v_fma_f64 v[60:61], v[132:133], s[2:3], v[60:61]
	v_add_f64_e32 v[54:55], v[54:55], v[102:103]
	v_add_f64_e32 v[56:57], v[56:57], v[160:161]
	v_add_f64_e32 v[58:59], v[58:59], v[70:71]
	v_mul_f64_e32 v[70:71], s[30:31], v[128:129]
	v_add_f64_e32 v[52:53], v[62:63], v[52:53]
	v_mul_f64_e32 v[62:63], s[28:29], v[128:129]
	v_add_f64_e32 v[56:57], v[60:61], v[56:57]
	s_delay_alu instid0(VALU_DEP_2) | instskip(SKIP_1) | instid1(VALU_DEP_2)
	v_fma_f64 v[66:67], v[134:135], s[2:3], v[62:63]
	v_fma_f64 v[60:61], v[134:135], s[2:3], -v[62:63]
	v_add_f64_e32 v[54:55], v[66:67], v[54:55]
	v_mul_f64_e32 v[66:67], s[20:21], v[138:139]
	s_delay_alu instid0(VALU_DEP_3) | instskip(NEXT) | instid1(VALU_DEP_2)
	v_add_f64_e32 v[58:59], v[60:61], v[58:59]
	v_fma_f64 v[68:69], v[140:141], s[8:9], -v[66:67]
	v_fma_f64 v[60:61], v[140:141], s[8:9], v[66:67]
	v_mul_f64_e32 v[66:67], s[20:21], v[120:121]
	s_delay_alu instid0(VALU_DEP_3) | instskip(SKIP_1) | instid1(VALU_DEP_4)
	v_add_f64_e32 v[52:53], v[68:69], v[52:53]
	v_mul_f64_e32 v[68:69], s[20:21], v[136:137]
	v_add_f64_e32 v[56:57], v[60:61], v[56:57]
	s_delay_alu instid0(VALU_DEP_2) | instskip(SKIP_2) | instid1(VALU_DEP_3)
	v_fma_f64 v[86:87], v[142:143], s[8:9], v[68:69]
	v_fma_f64 v[60:61], v[142:143], s[8:9], -v[68:69]
	v_mul_f64_e32 v[68:69], s[30:31], v[130:131]
	v_add_f64_e32 v[54:55], v[86:87], v[54:55]
	v_mul_f64_e32 v[86:87], s[22:23], v[146:147]
	s_delay_alu instid0(VALU_DEP_4) | instskip(NEXT) | instid1(VALU_DEP_2)
	v_add_f64_e32 v[58:59], v[60:61], v[58:59]
	v_fma_f64 v[88:89], v[148:149], s[18:19], -v[86:87]
	v_fma_f64 v[60:61], v[148:149], s[18:19], v[86:87]
	v_mul_f64_e32 v[86:87], s[38:39], v[136:137]
	s_delay_alu instid0(VALU_DEP_3) | instskip(SKIP_1) | instid1(VALU_DEP_4)
	v_add_f64_e32 v[52:53], v[88:89], v[52:53]
	v_mul_f64_e32 v[88:89], s[22:23], v[144:145]
	v_add_f64_e32 v[56:57], v[60:61], v[56:57]
	s_delay_alu instid0(VALU_DEP_2) | instskip(SKIP_2) | instid1(VALU_DEP_3)
	v_fma_f64 v[92:93], v[150:151], s[18:19], v[88:89]
	v_fma_f64 v[60:61], v[150:151], s[18:19], -v[88:89]
	v_mul_f64_e32 v[88:89], s[34:35], v[146:147]
	v_add_f64_e32 v[54:55], v[92:93], v[54:55]
	v_mul_f64_e32 v[92:93], s[30:31], v[154:155]
	s_delay_alu instid0(VALU_DEP_4) | instskip(NEXT) | instid1(VALU_DEP_2)
	v_add_f64_e32 v[58:59], v[60:61], v[58:59]
	v_fma_f64 v[94:95], v[156:157], s[24:25], -v[92:93]
	v_fma_f64 v[60:61], v[156:157], s[24:25], v[92:93]
	s_delay_alu instid0(VALU_DEP_2) | instskip(SKIP_1) | instid1(VALU_DEP_3)
	v_add_f64_e32 v[52:53], v[94:95], v[52:53]
	v_mul_f64_e32 v[94:95], s[30:31], v[152:153]
	v_add_f64_e32 v[92:93], v[60:61], v[56:57]
	v_mul_f64_e32 v[56:57], s[20:21], v[122:123]
	v_fma_f64 v[60:61], v[126:127], s[8:9], v[66:67]
	v_fma_f64 v[66:67], v[126:127], s[8:9], -v[66:67]
	v_fma_f64 v[62:63], v[158:159], s[24:25], -v[94:95]
	v_fma_f64 v[102:103], v[158:159], s[24:25], v[94:95]
	s_delay_alu instid0(VALU_DEP_4) | instskip(NEXT) | instid1(VALU_DEP_4)
	v_add_f64_e32 v[60:61], v[60:61], v[104:105]
	v_add_f64_e32 v[66:67], v[66:67], v[90:91]
	s_wait_alu 0xfffe
	v_mul_f64_e32 v[104:105], s[36:37], v[154:155]
	v_add_f64_e32 v[94:95], v[62:63], v[58:59]
	v_fma_f64 v[58:59], v[124:125], s[8:9], -v[56:57]
	v_fma_f64 v[62:63], v[132:133], s[24:25], -v[68:69]
	v_fma_f64 v[56:57], v[124:125], s[8:9], v[56:57]
	v_fma_f64 v[68:69], v[132:133], s[24:25], v[68:69]
	v_add_f64_e32 v[54:55], v[102:103], v[54:55]
	v_mul_f64_e32 v[102:103], s[34:35], v[144:145]
	v_add_f64_e32 v[58:59], v[58:59], v[80:81]
	v_mul_f64_e32 v[80:81], s[38:39], v[138:139]
	v_add_f64_e32 v[56:57], v[56:57], v[162:163]
	s_delay_alu instid0(VALU_DEP_3) | instskip(SKIP_1) | instid1(VALU_DEP_3)
	v_add_f64_e32 v[58:59], v[62:63], v[58:59]
	v_fma_f64 v[62:63], v[134:135], s[24:25], v[70:71]
	v_add_f64_e32 v[56:57], v[68:69], v[56:57]
	v_fma_f64 v[68:69], v[134:135], s[24:25], -v[70:71]
	s_delay_alu instid0(VALU_DEP_3) | instskip(SKIP_1) | instid1(VALU_DEP_3)
	v_add_f64_e32 v[60:61], v[62:63], v[60:61]
	v_fma_f64 v[62:63], v[140:141], s[18:19], -v[80:81]
	v_add_f64_e32 v[66:67], v[68:69], v[66:67]
	v_fma_f64 v[68:69], v[140:141], s[18:19], v[80:81]
	v_mul_f64_e32 v[80:81], s[30:31], v[120:121]
	s_delay_alu instid0(VALU_DEP_4) | instskip(SKIP_1) | instid1(VALU_DEP_4)
	v_add_f64_e32 v[58:59], v[62:63], v[58:59]
	v_fma_f64 v[62:63], v[142:143], s[18:19], v[86:87]
	v_add_f64_e32 v[56:57], v[68:69], v[56:57]
	v_fma_f64 v[68:69], v[142:143], s[18:19], -v[86:87]
	v_fma_f64 v[70:71], v[126:127], s[24:25], v[80:81]
	s_delay_alu instid0(VALU_DEP_4) | instskip(SKIP_1) | instid1(VALU_DEP_4)
	v_add_f64_e32 v[60:61], v[62:63], v[60:61]
	v_fma_f64 v[62:63], v[148:149], s[2:3], -v[88:89]
	v_add_f64_e32 v[66:67], v[68:69], v[66:67]
	v_fma_f64 v[68:69], v[148:149], s[2:3], v[88:89]
	v_add_f64_e32 v[70:71], v[70:71], v[106:107]
	s_delay_alu instid0(VALU_DEP_4) | instskip(SKIP_1) | instid1(VALU_DEP_4)
	v_add_f64_e32 v[58:59], v[62:63], v[58:59]
	v_fma_f64 v[62:63], v[150:151], s[2:3], v[102:103]
	v_add_f64_e32 v[56:57], v[68:69], v[56:57]
	v_fma_f64 v[68:69], v[150:151], s[2:3], -v[102:103]
	s_delay_alu instid0(VALU_DEP_3) | instskip(SKIP_1) | instid1(VALU_DEP_3)
	v_add_f64_e32 v[62:63], v[62:63], v[60:61]
	v_fma_f64 v[60:61], v[156:157], s[16:17], -v[104:105]
	v_add_f64_e32 v[66:67], v[68:69], v[66:67]
	v_fma_f64 v[68:69], v[156:157], s[16:17], v[104:105]
	s_delay_alu instid0(VALU_DEP_3) | instskip(SKIP_1) | instid1(VALU_DEP_3)
	v_add_f64_e32 v[60:61], v[60:61], v[58:59]
	v_mul_f64_e32 v[58:59], s[36:37], v[152:153]
	v_add_f64_e32 v[56:57], v[68:69], v[56:57]
	s_delay_alu instid0(VALU_DEP_2) | instskip(SKIP_1) | instid1(VALU_DEP_2)
	v_fma_f64 v[118:119], v[158:159], s[16:17], v[58:59]
	v_fma_f64 v[58:59], v[158:159], s[16:17], -v[58:59]
	v_add_f64_e32 v[62:63], v[118:119], v[62:63]
	s_delay_alu instid0(VALU_DEP_2) | instskip(SKIP_1) | instid1(VALU_DEP_1)
	v_add_f64_e32 v[58:59], v[58:59], v[66:67]
	v_mul_f64_e32 v[66:67], s[30:31], v[122:123]
	v_fma_f64 v[68:69], v[124:125], s[24:25], -v[66:67]
	v_fma_f64 v[66:67], v[124:125], s[24:25], v[66:67]
	s_delay_alu instid0(VALU_DEP_2) | instskip(SKIP_1) | instid1(VALU_DEP_3)
	v_add_f64_e32 v[68:69], v[68:69], v[82:83]
	v_mul_f64_e32 v[82:83], s[44:45], v[130:131]
	v_add_f64_e32 v[64:65], v[66:67], v[64:65]
	v_fma_f64 v[66:67], v[126:127], s[24:25], -v[80:81]
	s_delay_alu instid0(VALU_DEP_3) | instskip(SKIP_1) | instid1(VALU_DEP_3)
	v_fma_f64 v[86:87], v[132:133], s[8:9], -v[82:83]
	v_fma_f64 v[80:81], v[132:133], s[8:9], v[82:83]
	v_add_f64_e32 v[66:67], v[66:67], v[164:165]
	s_delay_alu instid0(VALU_DEP_3) | instskip(SKIP_1) | instid1(VALU_DEP_4)
	v_add_f64_e32 v[68:69], v[86:87], v[68:69]
	v_mul_f64_e32 v[86:87], s[44:45], v[128:129]
	v_add_f64_e32 v[64:65], v[80:81], v[64:65]
	s_delay_alu instid0(VALU_DEP_2) | instskip(SKIP_2) | instid1(VALU_DEP_3)
	v_fma_f64 v[88:89], v[134:135], s[8:9], v[86:87]
	v_fma_f64 v[80:81], v[134:135], s[8:9], -v[86:87]
	v_mul_f64_e32 v[86:87], s[38:39], v[122:123]
	v_add_f64_e32 v[70:71], v[88:89], v[70:71]
	v_mul_f64_e32 v[88:89], s[36:37], v[138:139]
	s_delay_alu instid0(VALU_DEP_4) | instskip(NEXT) | instid1(VALU_DEP_2)
	v_add_f64_e32 v[66:67], v[80:81], v[66:67]
	v_fma_f64 v[90:91], v[140:141], s[16:17], -v[88:89]
	v_fma_f64 v[80:81], v[140:141], s[16:17], v[88:89]
	v_mul_f64_e32 v[88:89], s[36:37], v[130:131]
	s_delay_alu instid0(VALU_DEP_3) | instskip(SKIP_1) | instid1(VALU_DEP_4)
	v_add_f64_e32 v[68:69], v[90:91], v[68:69]
	v_mul_f64_e32 v[90:91], s[36:37], v[136:137]
	v_add_f64_e32 v[64:65], v[80:81], v[64:65]
	s_delay_alu instid0(VALU_DEP_2) | instskip(SKIP_3) | instid1(VALU_DEP_4)
	v_fma_f64 v[102:103], v[142:143], s[16:17], v[90:91]
	v_fma_f64 v[80:81], v[142:143], s[16:17], -v[90:91]
	v_fma_f64 v[90:91], v[132:133], s[16:17], -v[88:89]
	v_fma_f64 v[88:89], v[132:133], s[16:17], v[88:89]
	v_add_f64_e32 v[70:71], v[102:103], v[70:71]
	v_mul_f64_e32 v[102:103], s[26:27], v[146:147]
	v_add_f64_e32 v[66:67], v[80:81], v[66:67]
	s_delay_alu instid0(VALU_DEP_2) | instskip(SKIP_1) | instid1(VALU_DEP_2)
	v_fma_f64 v[104:105], v[148:149], s[14:15], -v[102:103]
	v_fma_f64 v[80:81], v[148:149], s[14:15], v[102:103]
	v_add_f64_e32 v[68:69], v[104:105], v[68:69]
	v_mul_f64_e32 v[104:105], s[26:27], v[144:145]
	s_delay_alu instid0(VALU_DEP_3) | instskip(NEXT) | instid1(VALU_DEP_2)
	v_add_f64_e32 v[64:65], v[80:81], v[64:65]
	v_fma_f64 v[106:107], v[150:151], s[14:15], v[104:105]
	v_fma_f64 v[80:81], v[150:151], s[14:15], -v[104:105]
	s_delay_alu instid0(VALU_DEP_2) | instskip(SKIP_1) | instid1(VALU_DEP_3)
	v_add_f64_e32 v[70:71], v[106:107], v[70:71]
	v_mul_f64_e32 v[106:107], s[22:23], v[154:155]
	v_add_f64_e32 v[66:67], v[80:81], v[66:67]
	s_delay_alu instid0(VALU_DEP_2) | instskip(SKIP_1) | instid1(VALU_DEP_2)
	v_fma_f64 v[118:119], v[156:157], s[18:19], -v[106:107]
	v_fma_f64 v[80:81], v[156:157], s[18:19], v[106:107]
	v_add_f64_e32 v[68:69], v[118:119], v[68:69]
	v_mul_f64_e32 v[118:119], s[22:23], v[152:153]
	s_delay_alu instid0(VALU_DEP_3) | instskip(SKIP_2) | instid1(VALU_DEP_4)
	v_add_f64_e32 v[64:65], v[80:81], v[64:65]
	v_fma_f64 v[80:81], v[124:125], s[18:19], -v[86:87]
	v_fma_f64 v[86:87], v[124:125], s[18:19], v[86:87]
	v_fma_f64 v[82:83], v[158:159], s[18:19], -v[118:119]
	v_fma_f64 v[160:161], v[158:159], s[18:19], v[118:119]
	s_delay_alu instid0(VALU_DEP_4)
	v_add_f64_e32 v[80:81], v[80:81], v[84:85]
	v_mul_f64_e32 v[84:85], s[38:39], v[120:121]
	v_add_f64_e32 v[86:87], v[86:87], v[166:167]
	v_add_f64_e32 v[66:67], v[82:83], v[66:67]
	;; [unrolled: 1-line block ×4, first 2 shown]
	v_fma_f64 v[82:83], v[126:127], s[18:19], v[84:85]
	v_mul_f64_e32 v[90:91], s[36:37], v[128:129]
	v_fma_f64 v[84:85], v[126:127], s[18:19], -v[84:85]
	v_add_f64_e32 v[86:87], v[88:89], v[86:87]
	s_delay_alu instid0(VALU_DEP_4) | instskip(NEXT) | instid1(VALU_DEP_4)
	v_add_f64_e32 v[82:83], v[82:83], v[112:113]
	v_fma_f64 v[102:103], v[134:135], s[16:17], v[90:91]
	s_delay_alu instid0(VALU_DEP_4) | instskip(SKIP_1) | instid1(VALU_DEP_3)
	v_add_f64_e32 v[84:85], v[84:85], v[168:169]
	v_fma_f64 v[88:89], v[134:135], s[16:17], -v[90:91]
	v_add_f64_e32 v[82:83], v[102:103], v[82:83]
	v_mul_f64_e32 v[102:103], s[28:29], v[138:139]
	s_delay_alu instid0(VALU_DEP_3) | instskip(NEXT) | instid1(VALU_DEP_2)
	v_add_f64_e32 v[84:85], v[88:89], v[84:85]
	v_fma_f64 v[104:105], v[140:141], s[2:3], -v[102:103]
	v_fma_f64 v[88:89], v[140:141], s[2:3], v[102:103]
	v_mul_f64_e32 v[102:103], s[34:35], v[122:123]
	s_delay_alu instid0(VALU_DEP_3) | instskip(SKIP_1) | instid1(VALU_DEP_4)
	v_add_f64_e32 v[80:81], v[104:105], v[80:81]
	v_mul_f64_e32 v[104:105], s[28:29], v[136:137]
	v_add_f64_e32 v[86:87], v[88:89], v[86:87]
	s_delay_alu instid0(VALU_DEP_2) | instskip(SKIP_2) | instid1(VALU_DEP_3)
	v_fma_f64 v[106:107], v[142:143], s[2:3], v[104:105]
	v_fma_f64 v[88:89], v[142:143], s[2:3], -v[104:105]
	v_mul_f64_e32 v[104:105], s[34:35], v[120:121]
	v_add_f64_e32 v[82:83], v[106:107], v[82:83]
	v_mul_f64_e32 v[106:107], s[42:43], v[146:147]
	s_delay_alu instid0(VALU_DEP_4) | instskip(NEXT) | instid1(VALU_DEP_2)
	v_add_f64_e32 v[84:85], v[88:89], v[84:85]
	v_fma_f64 v[112:113], v[148:149], s[24:25], -v[106:107]
	v_fma_f64 v[88:89], v[148:149], s[24:25], v[106:107]
	v_mul_f64_e32 v[106:107], s[26:27], v[130:131]
	s_delay_alu instid0(VALU_DEP_3) | instskip(SKIP_1) | instid1(VALU_DEP_4)
	v_add_f64_e32 v[80:81], v[112:113], v[80:81]
	v_mul_f64_e32 v[112:113], s[42:43], v[144:145]
	v_add_f64_e32 v[86:87], v[88:89], v[86:87]
	s_delay_alu instid0(VALU_DEP_2) | instskip(SKIP_2) | instid1(VALU_DEP_3)
	v_fma_f64 v[118:119], v[150:151], s[24:25], v[112:113]
	v_fma_f64 v[88:89], v[150:151], s[24:25], -v[112:113]
	v_fma_f64 v[112:113], v[132:133], s[14:15], -v[106:107]
	v_add_f64_e32 v[82:83], v[118:119], v[82:83]
	v_mul_f64_e32 v[118:119], s[40:41], v[154:155]
	s_delay_alu instid0(VALU_DEP_4) | instskip(NEXT) | instid1(VALU_DEP_2)
	v_add_f64_e32 v[88:89], v[88:89], v[84:85]
	v_fma_f64 v[160:161], v[156:157], s[14:15], -v[118:119]
	v_fma_f64 v[84:85], v[156:157], s[14:15], v[118:119]
	s_delay_alu instid0(VALU_DEP_2) | instskip(SKIP_1) | instid1(VALU_DEP_3)
	v_add_f64_e32 v[80:81], v[160:161], v[80:81]
	v_mul_f64_e32 v[160:161], s[40:41], v[152:153]
	v_add_f64_e32 v[84:85], v[84:85], v[86:87]
	s_delay_alu instid0(VALU_DEP_2) | instskip(SKIP_1) | instid1(VALU_DEP_2)
	v_fma_f64 v[90:91], v[158:159], s[14:15], -v[160:161]
	v_fma_f64 v[162:163], v[158:159], s[14:15], v[160:161]
	v_add_f64_e32 v[86:87], v[90:91], v[88:89]
	v_fma_f64 v[88:89], v[124:125], s[2:3], -v[102:103]
	v_fma_f64 v[90:91], v[126:127], s[2:3], v[104:105]
	v_fma_f64 v[102:103], v[124:125], s[2:3], v[102:103]
	v_fma_f64 v[104:105], v[126:127], s[2:3], -v[104:105]
	v_add_f64_e32 v[82:83], v[162:163], v[82:83]
	v_add_f64_e32 v[88:89], v[88:89], v[170:171]
	;; [unrolled: 1-line block ×5, first 2 shown]
	v_fma_f64 v[104:105], v[132:133], s[14:15], v[106:107]
	v_add_f64_e32 v[88:89], v[112:113], v[88:89]
	v_mul_f64_e32 v[112:113], s[26:27], v[128:129]
	s_delay_alu instid0(VALU_DEP_3) | instskip(NEXT) | instid1(VALU_DEP_2)
	v_add_f64_e32 v[102:103], v[104:105], v[102:103]
	v_fma_f64 v[114:115], v[134:135], s[14:15], v[112:113]
	v_fma_f64 v[104:105], v[134:135], s[14:15], -v[112:113]
	s_delay_alu instid0(VALU_DEP_2) | instskip(SKIP_1) | instid1(VALU_DEP_3)
	v_add_f64_e32 v[90:91], v[114:115], v[90:91]
	v_mul_f64_e32 v[114:115], s[42:43], v[138:139]
	v_add_f64_e32 v[100:101], v[104:105], v[100:101]
	s_delay_alu instid0(VALU_DEP_2) | instskip(SKIP_1) | instid1(VALU_DEP_2)
	v_fma_f64 v[118:119], v[140:141], s[24:25], -v[114:115]
	v_fma_f64 v[104:105], v[140:141], s[24:25], v[114:115]
	v_add_f64_e32 v[88:89], v[118:119], v[88:89]
	v_mul_f64_e32 v[118:119], s[42:43], v[136:137]
	s_delay_alu instid0(VALU_DEP_3) | instskip(NEXT) | instid1(VALU_DEP_2)
	v_add_f64_e32 v[102:103], v[104:105], v[102:103]
	v_fma_f64 v[160:161], v[142:143], s[24:25], v[118:119]
	v_fma_f64 v[104:105], v[142:143], s[24:25], -v[118:119]
	v_mul_f64_e32 v[118:119], s[36:37], v[120:121]
	v_mul_f64_e32 v[120:121], s[22:23], v[128:129]
	;; [unrolled: 1-line block ×4, first 2 shown]
	v_add_f64_e32 v[90:91], v[160:161], v[90:91]
	v_mul_f64_e32 v[160:161], s[36:37], v[146:147]
	v_add_f64_e32 v[100:101], v[104:105], v[100:101]
	v_fma_f64 v[112:113], v[126:127], s[16:17], v[118:119]
	s_delay_alu instid0(VALU_DEP_3) | instskip(SKIP_1) | instid1(VALU_DEP_3)
	v_fma_f64 v[162:163], v[148:149], s[16:17], -v[160:161]
	v_fma_f64 v[104:105], v[148:149], s[16:17], v[160:161]
	v_add_f64_e32 v[112:113], v[112:113], v[116:117]
	v_mul_f64_e32 v[116:117], s[22:23], v[130:131]
	v_mul_f64_e32 v[130:131], s[20:21], v[146:147]
	v_add_f64_e32 v[88:89], v[162:163], v[88:89]
	v_mul_f64_e32 v[162:163], s[36:37], v[144:145]
	v_add_f64_e32 v[102:103], v[104:105], v[102:103]
	v_fma_f64 v[114:115], v[132:133], s[18:19], -v[116:117]
	v_mul_f64_e32 v[144:145], s[34:35], v[152:153]
	v_fma_f64 v[116:117], v[132:133], s[18:19], v[116:117]
	v_fma_f64 v[164:165], v[150:151], s[16:17], v[162:163]
	v_fma_f64 v[104:105], v[150:151], s[16:17], -v[162:163]
	s_delay_alu instid0(VALU_DEP_2) | instskip(SKIP_1) | instid1(VALU_DEP_3)
	v_add_f64_e32 v[90:91], v[164:165], v[90:91]
	v_mul_f64_e32 v[164:165], s[20:21], v[154:155]
	v_add_f64_e32 v[100:101], v[104:105], v[100:101]
	s_delay_alu instid0(VALU_DEP_2) | instskip(SKIP_1) | instid1(VALU_DEP_2)
	v_fma_f64 v[166:167], v[156:157], s[8:9], -v[164:165]
	v_fma_f64 v[104:105], v[156:157], s[8:9], v[164:165]
	v_add_f64_e32 v[88:89], v[166:167], v[88:89]
	v_mul_f64_e32 v[166:167], s[20:21], v[152:153]
	s_delay_alu instid0(VALU_DEP_3) | instskip(NEXT) | instid1(VALU_DEP_2)
	v_add_f64_e32 v[104:105], v[104:105], v[102:103]
	v_fma_f64 v[106:107], v[158:159], s[8:9], -v[166:167]
	v_fma_f64 v[168:169], v[158:159], s[8:9], v[166:167]
	s_delay_alu instid0(VALU_DEP_2) | instskip(SKIP_4) | instid1(VALU_DEP_4)
	v_add_f64_e32 v[106:107], v[106:107], v[100:101]
	v_mul_f64_e32 v[100:101], s[36:37], v[122:123]
	v_mul_f64_e32 v[122:123], s[40:41], v[138:139]
	;; [unrolled: 1-line block ×3, first 2 shown]
	v_add_f64_e32 v[90:91], v[168:169], v[90:91]
	v_fma_f64 v[102:103], v[124:125], s[16:17], -v[100:101]
	v_fma_f64 v[100:101], v[124:125], s[16:17], v[100:101]
	v_mul_f64_e32 v[124:125], s[28:29], v[76:77]
	s_delay_alu instid0(VALU_DEP_3) | instskip(NEXT) | instid1(VALU_DEP_3)
	v_add_f64_e32 v[102:103], v[102:103], v[174:175]
	v_add_f64_e32 v[100:101], v[100:101], v[176:177]
	s_delay_alu instid0(VALU_DEP_2) | instskip(SKIP_1) | instid1(VALU_DEP_3)
	v_add_f64_e32 v[102:103], v[114:115], v[102:103]
	v_fma_f64 v[114:115], v[134:135], s[18:19], v[120:121]
	v_add_f64_e32 v[100:101], v[116:117], v[100:101]
	v_fma_f64 v[116:117], v[148:149], s[8:9], v[130:131]
	s_delay_alu instid0(VALU_DEP_3) | instskip(SKIP_1) | instid1(VALU_DEP_1)
	v_add_f64_e32 v[112:113], v[114:115], v[112:113]
	v_fma_f64 v[114:115], v[140:141], s[14:15], -v[122:123]
	v_add_f64_e32 v[102:103], v[114:115], v[102:103]
	v_fma_f64 v[114:115], v[142:143], s[14:15], v[128:129]
	s_delay_alu instid0(VALU_DEP_1) | instskip(SKIP_1) | instid1(VALU_DEP_1)
	v_add_f64_e32 v[112:113], v[114:115], v[112:113]
	v_fma_f64 v[114:115], v[148:149], s[8:9], -v[130:131]
	v_add_f64_e32 v[102:103], v[114:115], v[102:103]
	v_fma_f64 v[114:115], v[150:151], s[8:9], v[136:137]
	s_delay_alu instid0(VALU_DEP_1) | instskip(SKIP_1) | instid1(VALU_DEP_1)
	v_add_f64_e32 v[114:115], v[114:115], v[112:113]
	v_fma_f64 v[112:113], v[156:157], s[2:3], -v[138:139]
	v_add_f64_e32 v[112:113], v[112:113], v[102:103]
	v_fma_f64 v[102:103], v[158:159], s[2:3], v[144:145]
	s_delay_alu instid0(VALU_DEP_1)
	v_add_f64_e32 v[114:115], v[102:103], v[114:115]
	v_fma_f64 v[102:103], v[126:127], s[16:17], -v[118:119]
	v_fma_f64 v[118:119], v[134:135], s[18:19], -v[120:121]
	v_fma_f64 v[120:121], v[140:141], s[14:15], v[122:123]
	v_fma_f64 v[122:123], v[142:143], s[14:15], -v[128:129]
	v_fma_f64 v[126:127], v[16:17], s[2:3], -v[124:125]
	v_fma_f64 v[124:125], v[16:17], s[2:3], v[124:125]
	v_add_f64_e32 v[102:103], v[102:103], v[178:179]
	v_add_f64_e32 v[100:101], v[120:121], v[100:101]
	v_mul_f64_e32 v[120:121], s[26:27], v[74:75]
	s_delay_alu instid0(VALU_DEP_3) | instskip(SKIP_1) | instid1(VALU_DEP_4)
	v_add_f64_e32 v[102:103], v[118:119], v[102:103]
	v_fma_f64 v[118:119], v[150:151], s[8:9], -v[136:137]
	v_add_f64_e32 v[100:101], v[116:117], v[100:101]
	v_fma_f64 v[116:117], v[156:157], s[2:3], v[138:139]
	s_delay_alu instid0(VALU_DEP_4) | instskip(SKIP_1) | instid1(VALU_DEP_3)
	v_add_f64_e32 v[102:103], v[122:123], v[102:103]
	v_mul_f64_e32 v[122:123], s[26:27], v[72:73]
	v_add_f64_e32 v[116:117], v[116:117], v[100:101]
	v_fma_f64 v[100:101], v[26:27], s[14:15], -v[120:121]
	v_fma_f64 v[120:121], v[26:27], s[14:15], v[120:121]
	v_add_f64_e32 v[102:103], v[118:119], v[102:103]
	v_fma_f64 v[118:119], v[158:159], s[2:3], -v[144:145]
	s_delay_alu instid0(VALU_DEP_4) | instskip(NEXT) | instid1(VALU_DEP_4)
	v_add_f64_e32 v[100:101], v[100:101], v[194:195]
	v_add_f64_e32 v[120:121], v[120:121], v[197:198]
	s_delay_alu instid0(VALU_DEP_3)
	v_add_f64_e32 v[118:119], v[118:119], v[102:103]
	v_fma_f64 v[102:103], v[28:29], s[14:15], v[122:123]
	v_fma_f64 v[122:123], v[28:29], s[14:15], -v[122:123]
	v_add_f64_e32 v[100:101], v[126:127], v[100:101]
	v_mul_f64_e32 v[126:127], s[28:29], v[38:39]
	v_add_f64_e32 v[120:121], v[124:125], v[120:121]
	v_add_f64_e32 v[102:103], v[102:103], v[182:183]
	;; [unrolled: 1-line block ×3, first 2 shown]
	s_delay_alu instid0(VALU_DEP_4) | instskip(SKIP_1) | instid1(VALU_DEP_2)
	v_fma_f64 v[128:129], v[18:19], s[2:3], v[126:127]
	v_fma_f64 v[124:125], v[18:19], s[2:3], -v[126:127]
	v_add_f64_e32 v[102:103], v[128:129], v[102:103]
	v_mul_f64_e32 v[128:129], s[20:21], v[32:33]
	s_delay_alu instid0(VALU_DEP_3) | instskip(NEXT) | instid1(VALU_DEP_2)
	v_add_f64_e32 v[122:123], v[124:125], v[122:123]
	v_fma_f64 v[130:131], v[12:13], s[8:9], -v[128:129]
	v_fma_f64 v[124:125], v[12:13], s[8:9], v[128:129]
	v_mul_f64_e32 v[128:129], s[30:31], v[76:77]
	s_delay_alu instid0(VALU_DEP_3) | instskip(SKIP_1) | instid1(VALU_DEP_4)
	v_add_f64_e32 v[100:101], v[130:131], v[100:101]
	v_mul_f64_e32 v[130:131], s[20:21], v[30:31]
	v_add_f64_e32 v[120:121], v[124:125], v[120:121]
	s_delay_alu instid0(VALU_DEP_2) | instskip(SKIP_2) | instid1(VALU_DEP_3)
	v_fma_f64 v[132:133], v[14:15], s[8:9], v[130:131]
	v_fma_f64 v[124:125], v[14:15], s[8:9], -v[130:131]
	v_fma_f64 v[130:131], v[16:17], s[24:25], -v[128:129]
	v_add_f64_e32 v[102:103], v[132:133], v[102:103]
	v_mul_f64_e32 v[132:133], s[22:23], v[22:23]
	s_delay_alu instid0(VALU_DEP_4) | instskip(NEXT) | instid1(VALU_DEP_2)
	v_add_f64_e32 v[122:123], v[124:125], v[122:123]
	v_fma_f64 v[134:135], v[8:9], s[18:19], -v[132:133]
	v_fma_f64 v[124:125], v[8:9], s[18:19], v[132:133]
	s_delay_alu instid0(VALU_DEP_2) | instskip(SKIP_1) | instid1(VALU_DEP_3)
	v_add_f64_e32 v[100:101], v[134:135], v[100:101]
	v_mul_f64_e32 v[134:135], s[22:23], v[20:21]
	v_add_f64_e32 v[120:121], v[124:125], v[120:121]
	s_delay_alu instid0(VALU_DEP_2) | instskip(SKIP_1) | instid1(VALU_DEP_2)
	v_fma_f64 v[136:137], v[10:11], s[18:19], v[134:135]
	v_fma_f64 v[124:125], v[10:11], s[18:19], -v[134:135]
	v_add_f64_e32 v[102:103], v[136:137], v[102:103]
	v_mul_f64_e32 v[136:137], s[30:31], v[2:3]
	s_delay_alu instid0(VALU_DEP_3) | instskip(NEXT) | instid1(VALU_DEP_2)
	v_add_f64_e32 v[122:123], v[124:125], v[122:123]
	v_fma_f64 v[138:139], v[4:5], s[24:25], -v[136:137]
	v_fma_f64 v[124:125], v[4:5], s[24:25], v[136:137]
	s_delay_alu instid0(VALU_DEP_2) | instskip(SKIP_1) | instid1(VALU_DEP_3)
	v_add_f64_e32 v[100:101], v[138:139], v[100:101]
	v_mul_f64_e32 v[138:139], s[30:31], v[0:1]
	v_add_f64_e32 v[152:153], v[124:125], v[120:121]
	v_mul_f64_e32 v[120:121], s[20:21], v[74:75]
	v_mul_f64_e32 v[124:125], s[20:21], v[72:73]
	s_delay_alu instid0(VALU_DEP_4) | instskip(SKIP_1) | instid1(VALU_DEP_2)
	v_fma_f64 v[126:127], v[6:7], s[24:25], -v[138:139]
	v_fma_f64 v[140:141], v[6:7], s[24:25], v[138:139]
	v_add_f64_e32 v[154:155], v[126:127], v[122:123]
	v_fma_f64 v[122:123], v[26:27], s[8:9], -v[120:121]
	v_fma_f64 v[126:127], v[28:29], s[8:9], v[124:125]
	s_delay_alu instid0(VALU_DEP_4) | instskip(SKIP_4) | instid1(VALU_DEP_4)
	v_add_f64_e32 v[102:103], v[140:141], v[102:103]
	v_fma_f64 v[120:121], v[26:27], s[8:9], v[120:121]
	v_fma_f64 v[124:125], v[28:29], s[8:9], -v[124:125]
	v_add_f64_e32 v[122:123], v[122:123], v[201:202]
	v_add_f64_e32 v[126:127], v[126:127], v[184:185]
	;; [unrolled: 1-line block ×3, first 2 shown]
	s_delay_alu instid0(VALU_DEP_4) | instskip(NEXT) | instid1(VALU_DEP_4)
	v_add_f64_e32 v[124:125], v[124:125], v[205:206]
	v_add_f64_e32 v[122:123], v[130:131], v[122:123]
	v_mul_f64_e32 v[130:131], s[30:31], v[38:39]
	s_delay_alu instid0(VALU_DEP_1) | instskip(NEXT) | instid1(VALU_DEP_1)
	v_fma_f64 v[132:133], v[18:19], s[24:25], v[130:131]
	v_add_f64_e32 v[126:127], v[132:133], v[126:127]
	v_mul_f64_e32 v[132:133], s[38:39], v[32:33]
	s_delay_alu instid0(VALU_DEP_1) | instskip(NEXT) | instid1(VALU_DEP_1)
	v_fma_f64 v[134:135], v[12:13], s[18:19], -v[132:133]
	v_add_f64_e32 v[122:123], v[134:135], v[122:123]
	v_mul_f64_e32 v[134:135], s[38:39], v[30:31]
	s_delay_alu instid0(VALU_DEP_1) | instskip(NEXT) | instid1(VALU_DEP_1)
	v_fma_f64 v[136:137], v[14:15], s[18:19], v[134:135]
	v_add_f64_e32 v[126:127], v[136:137], v[126:127]
	v_mul_f64_e32 v[136:137], s[34:35], v[22:23]
	s_delay_alu instid0(VALU_DEP_1) | instskip(NEXT) | instid1(VALU_DEP_1)
	v_fma_f64 v[138:139], v[8:9], s[2:3], -v[136:137]
	;; [unrolled: 8-line block ×3, first 2 shown]
	v_add_f64_e32 v[144:145], v[142:143], v[122:123]
	v_mul_f64_e32 v[122:123], s[36:37], v[0:1]
	s_delay_alu instid0(VALU_DEP_1) | instskip(SKIP_1) | instid1(VALU_DEP_2)
	v_fma_f64 v[142:143], v[6:7], s[16:17], v[122:123]
	v_fma_f64 v[122:123], v[6:7], s[16:17], -v[122:123]
	v_add_f64_e32 v[146:147], v[142:143], v[126:127]
	v_fma_f64 v[126:127], v[16:17], s[24:25], v[128:129]
	v_mul_f64_e32 v[128:129], s[44:45], v[76:77]
	s_delay_alu instid0(VALU_DEP_2) | instskip(SKIP_1) | instid1(VALU_DEP_3)
	v_add_f64_e32 v[120:121], v[126:127], v[120:121]
	v_fma_f64 v[126:127], v[18:19], s[24:25], -v[130:131]
	v_fma_f64 v[130:131], v[16:17], s[8:9], -v[128:129]
	s_delay_alu instid0(VALU_DEP_2) | instskip(SKIP_1) | instid1(VALU_DEP_1)
	v_add_f64_e32 v[124:125], v[126:127], v[124:125]
	v_fma_f64 v[126:127], v[12:13], s[18:19], v[132:133]
	v_add_f64_e32 v[120:121], v[126:127], v[120:121]
	v_fma_f64 v[126:127], v[14:15], s[18:19], -v[134:135]
	s_delay_alu instid0(VALU_DEP_1) | instskip(SKIP_1) | instid1(VALU_DEP_1)
	v_add_f64_e32 v[124:125], v[126:127], v[124:125]
	v_fma_f64 v[126:127], v[8:9], s[2:3], v[136:137]
	v_add_f64_e32 v[120:121], v[126:127], v[120:121]
	v_fma_f64 v[126:127], v[10:11], s[2:3], -v[138:139]
	s_delay_alu instid0(VALU_DEP_1) | instskip(SKIP_1) | instid1(VALU_DEP_2)
	v_add_f64_e32 v[124:125], v[126:127], v[124:125]
	v_fma_f64 v[126:127], v[4:5], s[16:17], v[140:141]
	v_add_f64_e32 v[158:159], v[122:123], v[124:125]
	s_delay_alu instid0(VALU_DEP_2) | instskip(SKIP_2) | instid1(VALU_DEP_2)
	v_add_f64_e32 v[156:157], v[126:127], v[120:121]
	v_mul_f64_e32 v[120:121], s[30:31], v[74:75]
	v_mul_f64_e32 v[124:125], s[30:31], v[72:73]
	v_fma_f64 v[122:123], v[26:27], s[24:25], -v[120:121]
	s_delay_alu instid0(VALU_DEP_2) | instskip(SKIP_2) | instid1(VALU_DEP_4)
	v_fma_f64 v[126:127], v[28:29], s[24:25], v[124:125]
	v_fma_f64 v[120:121], v[26:27], s[24:25], v[120:121]
	v_fma_f64 v[124:125], v[28:29], s[24:25], -v[124:125]
	v_add_f64_e32 v[122:123], v[122:123], v[207:208]
	s_delay_alu instid0(VALU_DEP_4) | instskip(NEXT) | instid1(VALU_DEP_4)
	v_add_f64_e32 v[126:127], v[126:127], v[186:187]
	v_add_f64_e32 v[120:121], v[120:121], v[209:210]
	s_delay_alu instid0(VALU_DEP_4) | instskip(NEXT) | instid1(VALU_DEP_4)
	v_add_f64_e32 v[124:125], v[124:125], v[211:212]
	v_add_f64_e32 v[122:123], v[130:131], v[122:123]
	v_mul_f64_e32 v[130:131], s[44:45], v[38:39]
	s_delay_alu instid0(VALU_DEP_1) | instskip(NEXT) | instid1(VALU_DEP_1)
	v_fma_f64 v[132:133], v[18:19], s[8:9], v[130:131]
	v_add_f64_e32 v[126:127], v[132:133], v[126:127]
	v_mul_f64_e32 v[132:133], s[36:37], v[32:33]
	s_delay_alu instid0(VALU_DEP_1) | instskip(NEXT) | instid1(VALU_DEP_1)
	v_fma_f64 v[134:135], v[12:13], s[16:17], -v[132:133]
	v_add_f64_e32 v[122:123], v[134:135], v[122:123]
	v_mul_f64_e32 v[134:135], s[36:37], v[30:31]
	s_delay_alu instid0(VALU_DEP_1) | instskip(NEXT) | instid1(VALU_DEP_1)
	v_fma_f64 v[136:137], v[14:15], s[16:17], v[134:135]
	v_add_f64_e32 v[126:127], v[136:137], v[126:127]
	v_mul_f64_e32 v[136:137], s[26:27], v[22:23]
	s_delay_alu instid0(VALU_DEP_1) | instskip(NEXT) | instid1(VALU_DEP_1)
	v_fma_f64 v[138:139], v[8:9], s[14:15], -v[136:137]
	v_add_f64_e32 v[122:123], v[138:139], v[122:123]
	v_mul_f64_e32 v[138:139], s[26:27], v[20:21]
	s_delay_alu instid0(VALU_DEP_1) | instskip(NEXT) | instid1(VALU_DEP_1)
	v_fma_f64 v[140:141], v[10:11], s[14:15], v[138:139]
	v_add_f64_e32 v[126:127], v[140:141], v[126:127]
	v_mul_f64_e32 v[140:141], s[22:23], v[2:3]
	s_delay_alu instid0(VALU_DEP_1) | instskip(NEXT) | instid1(VALU_DEP_1)
	v_fma_f64 v[142:143], v[4:5], s[18:19], -v[140:141]
	v_add_f64_e32 v[148:149], v[142:143], v[122:123]
	v_mul_f64_e32 v[122:123], s[22:23], v[0:1]
	s_delay_alu instid0(VALU_DEP_1) | instskip(SKIP_1) | instid1(VALU_DEP_2)
	v_fma_f64 v[142:143], v[6:7], s[18:19], v[122:123]
	v_fma_f64 v[122:123], v[6:7], s[18:19], -v[122:123]
	v_add_f64_e32 v[150:151], v[142:143], v[126:127]
	v_fma_f64 v[126:127], v[16:17], s[8:9], v[128:129]
	v_mul_f64_e32 v[128:129], s[36:37], v[76:77]
	s_delay_alu instid0(VALU_DEP_2) | instskip(SKIP_1) | instid1(VALU_DEP_3)
	v_add_f64_e32 v[120:121], v[126:127], v[120:121]
	v_fma_f64 v[126:127], v[18:19], s[8:9], -v[130:131]
	v_fma_f64 v[130:131], v[16:17], s[16:17], -v[128:129]
	s_delay_alu instid0(VALU_DEP_2) | instskip(SKIP_1) | instid1(VALU_DEP_1)
	v_add_f64_e32 v[124:125], v[126:127], v[124:125]
	v_fma_f64 v[126:127], v[12:13], s[16:17], v[132:133]
	v_add_f64_e32 v[120:121], v[126:127], v[120:121]
	v_fma_f64 v[126:127], v[14:15], s[16:17], -v[134:135]
	s_delay_alu instid0(VALU_DEP_1) | instskip(SKIP_1) | instid1(VALU_DEP_1)
	v_add_f64_e32 v[124:125], v[126:127], v[124:125]
	v_fma_f64 v[126:127], v[8:9], s[14:15], v[136:137]
	v_add_f64_e32 v[120:121], v[126:127], v[120:121]
	v_fma_f64 v[126:127], v[10:11], s[14:15], -v[138:139]
	s_delay_alu instid0(VALU_DEP_1) | instskip(SKIP_1) | instid1(VALU_DEP_2)
	v_add_f64_e32 v[124:125], v[126:127], v[124:125]
	v_fma_f64 v[126:127], v[4:5], s[18:19], v[140:141]
	v_add_f64_e32 v[166:167], v[122:123], v[124:125]
	s_delay_alu instid0(VALU_DEP_2) | instskip(SKIP_2) | instid1(VALU_DEP_2)
	v_add_f64_e32 v[164:165], v[126:127], v[120:121]
	v_mul_f64_e32 v[120:121], s[38:39], v[74:75]
	v_mul_f64_e32 v[124:125], s[38:39], v[72:73]
	v_fma_f64 v[122:123], v[26:27], s[18:19], -v[120:121]
	s_delay_alu instid0(VALU_DEP_2) | instskip(SKIP_2) | instid1(VALU_DEP_4)
	v_fma_f64 v[126:127], v[28:29], s[18:19], v[124:125]
	v_fma_f64 v[120:121], v[26:27], s[18:19], v[120:121]
	v_fma_f64 v[124:125], v[28:29], s[18:19], -v[124:125]
	v_add_f64_e32 v[122:123], v[122:123], v[213:214]
	s_delay_alu instid0(VALU_DEP_4) | instskip(NEXT) | instid1(VALU_DEP_4)
	v_add_f64_e32 v[126:127], v[126:127], v[188:189]
	v_add_f64_e32 v[120:121], v[120:121], v[215:216]
	s_delay_alu instid0(VALU_DEP_4) | instskip(NEXT) | instid1(VALU_DEP_4)
	v_add_f64_e32 v[124:125], v[124:125], v[217:218]
	v_add_f64_e32 v[122:123], v[130:131], v[122:123]
	v_mul_f64_e32 v[130:131], s[36:37], v[38:39]
	s_delay_alu instid0(VALU_DEP_1) | instskip(NEXT) | instid1(VALU_DEP_1)
	v_fma_f64 v[132:133], v[18:19], s[16:17], v[130:131]
	v_add_f64_e32 v[126:127], v[132:133], v[126:127]
	v_mul_f64_e32 v[132:133], s[28:29], v[32:33]
	s_delay_alu instid0(VALU_DEP_1) | instskip(NEXT) | instid1(VALU_DEP_1)
	v_fma_f64 v[134:135], v[12:13], s[2:3], -v[132:133]
	v_add_f64_e32 v[122:123], v[134:135], v[122:123]
	v_mul_f64_e32 v[134:135], s[28:29], v[30:31]
	s_delay_alu instid0(VALU_DEP_1) | instskip(NEXT) | instid1(VALU_DEP_1)
	v_fma_f64 v[136:137], v[14:15], s[2:3], v[134:135]
	v_add_f64_e32 v[126:127], v[136:137], v[126:127]
	v_mul_f64_e32 v[136:137], s[42:43], v[22:23]
	s_delay_alu instid0(VALU_DEP_1) | instskip(NEXT) | instid1(VALU_DEP_1)
	v_fma_f64 v[138:139], v[8:9], s[24:25], -v[136:137]
	;; [unrolled: 8-line block ×3, first 2 shown]
	v_add_f64_e32 v[160:161], v[142:143], v[122:123]
	v_mul_f64_e32 v[122:123], s[40:41], v[0:1]
	s_delay_alu instid0(VALU_DEP_1) | instskip(SKIP_1) | instid1(VALU_DEP_2)
	v_fma_f64 v[142:143], v[6:7], s[14:15], v[122:123]
	v_fma_f64 v[122:123], v[6:7], s[14:15], -v[122:123]
	v_add_f64_e32 v[162:163], v[142:143], v[126:127]
	v_fma_f64 v[126:127], v[16:17], s[16:17], v[128:129]
	s_delay_alu instid0(VALU_DEP_1) | instskip(SKIP_1) | instid1(VALU_DEP_1)
	v_add_f64_e32 v[120:121], v[126:127], v[120:121]
	v_fma_f64 v[126:127], v[18:19], s[16:17], -v[130:131]
	v_add_f64_e32 v[124:125], v[126:127], v[124:125]
	v_fma_f64 v[126:127], v[12:13], s[2:3], v[132:133]
	s_delay_alu instid0(VALU_DEP_1) | instskip(SKIP_1) | instid1(VALU_DEP_1)
	v_add_f64_e32 v[120:121], v[126:127], v[120:121]
	;; [unrolled: 5-line block ×3, first 2 shown]
	v_fma_f64 v[126:127], v[10:11], s[24:25], -v[138:139]
	v_add_f64_e32 v[124:125], v[126:127], v[124:125]
	v_fma_f64 v[126:127], v[4:5], s[14:15], v[140:141]
	s_delay_alu instid0(VALU_DEP_2) | instskip(NEXT) | instid1(VALU_DEP_2)
	v_add_f64_e32 v[174:175], v[122:123], v[124:125]
	v_add_f64_e32 v[172:173], v[126:127], v[120:121]
	v_mul_f64_e32 v[120:121], s[34:35], v[74:75]
	s_delay_alu instid0(VALU_DEP_1) | instskip(NEXT) | instid1(VALU_DEP_1)
	v_fma_f64 v[122:123], v[26:27], s[2:3], -v[120:121]
	v_add_f64_e32 v[78:79], v[122:123], v[78:79]
	v_mul_f64_e32 v[122:123], s[34:35], v[72:73]
	s_delay_alu instid0(VALU_DEP_1) | instskip(NEXT) | instid1(VALU_DEP_1)
	v_fma_f64 v[124:125], v[28:29], s[2:3], v[122:123]
	v_add_f64_e32 v[46:47], v[124:125], v[46:47]
	v_mul_f64_e32 v[124:125], s[26:27], v[76:77]
	s_delay_alu instid0(VALU_DEP_1) | instskip(NEXT) | instid1(VALU_DEP_1)
	v_fma_f64 v[126:127], v[16:17], s[14:15], -v[124:125]
	v_add_f64_e32 v[78:79], v[126:127], v[78:79]
	v_mul_f64_e32 v[126:127], s[26:27], v[38:39]
	v_mul_f64_e32 v[38:39], s[22:23], v[38:39]
	s_delay_alu instid0(VALU_DEP_2) | instskip(NEXT) | instid1(VALU_DEP_1)
	v_fma_f64 v[128:129], v[18:19], s[14:15], v[126:127]
	v_add_f64_e32 v[46:47], v[128:129], v[46:47]
	v_mul_f64_e32 v[128:129], s[42:43], v[32:33]
	v_mul_f64_e32 v[32:33], s[40:41], v[32:33]
	s_delay_alu instid0(VALU_DEP_2) | instskip(NEXT) | instid1(VALU_DEP_1)
	v_fma_f64 v[130:131], v[12:13], s[24:25], -v[128:129]
	v_add_f64_e32 v[78:79], v[130:131], v[78:79]
	v_mul_f64_e32 v[130:131], s[42:43], v[30:31]
	v_mul_f64_e32 v[30:31], s[40:41], v[30:31]
	s_delay_alu instid0(VALU_DEP_2) | instskip(NEXT) | instid1(VALU_DEP_1)
	v_fma_f64 v[132:133], v[14:15], s[24:25], v[130:131]
	v_add_f64_e32 v[46:47], v[132:133], v[46:47]
	v_mul_f64_e32 v[132:133], s[36:37], v[22:23]
	v_mul_f64_e32 v[22:23], s[20:21], v[22:23]
	s_delay_alu instid0(VALU_DEP_2) | instskip(NEXT) | instid1(VALU_DEP_1)
	;; [unrolled: 10-line block ×3, first 2 shown]
	v_fma_f64 v[138:139], v[4:5], s[8:9], -v[136:137]
	v_add_f64_e32 v[168:169], v[138:139], v[78:79]
	v_mul_f64_e32 v[78:79], s[20:21], v[0:1]
	v_mul_f64_e32 v[0:1], s[34:35], v[0:1]
	s_delay_alu instid0(VALU_DEP_2) | instskip(SKIP_1) | instid1(VALU_DEP_2)
	v_fma_f64 v[138:139], v[6:7], s[8:9], v[78:79]
	v_fma_f64 v[78:79], v[6:7], s[8:9], -v[78:79]
	v_add_f64_e32 v[170:171], v[138:139], v[46:47]
	v_fma_f64 v[46:47], v[26:27], s[2:3], v[120:121]
	s_delay_alu instid0(VALU_DEP_1) | instskip(SKIP_1) | instid1(VALU_DEP_1)
	v_add_f64_e32 v[44:45], v[46:47], v[44:45]
	v_fma_f64 v[46:47], v[28:29], s[2:3], -v[122:123]
	v_add_f64_e32 v[42:43], v[46:47], v[42:43]
	v_fma_f64 v[46:47], v[16:17], s[14:15], v[124:125]
	s_delay_alu instid0(VALU_DEP_1)
	v_add_f64_e32 v[44:45], v[46:47], v[44:45]
	v_fma_f64 v[46:47], v[18:19], s[14:15], -v[126:127]
	scratch_load_b32 v126, off, off         ; 4-byte Folded Reload
	global_wb scope:SCOPE_SE
	s_wait_loadcnt 0x0
	s_barrier_signal -1
	s_barrier_wait -1
	global_inv scope:SCOPE_SE
	v_add_f64_e32 v[42:43], v[46:47], v[42:43]
	v_fma_f64 v[46:47], v[12:13], s[24:25], v[128:129]
	s_delay_alu instid0(VALU_DEP_1) | instskip(SKIP_1) | instid1(VALU_DEP_1)
	v_add_f64_e32 v[44:45], v[46:47], v[44:45]
	v_fma_f64 v[46:47], v[14:15], s[24:25], -v[130:131]
	v_add_f64_e32 v[42:43], v[46:47], v[42:43]
	v_fma_f64 v[46:47], v[8:9], s[16:17], v[132:133]
	s_delay_alu instid0(VALU_DEP_1) | instskip(SKIP_1) | instid1(VALU_DEP_1)
	v_add_f64_e32 v[44:45], v[46:47], v[44:45]
	v_fma_f64 v[46:47], v[10:11], s[16:17], -v[134:135]
	v_add_f64_e32 v[42:43], v[46:47], v[42:43]
	v_fma_f64 v[46:47], v[4:5], s[8:9], v[136:137]
	s_delay_alu instid0(VALU_DEP_2) | instskip(SKIP_1) | instid1(VALU_DEP_3)
	v_add_f64_e32 v[178:179], v[78:79], v[42:43]
	v_mul_f64_e32 v[42:43], s[36:37], v[74:75]
	v_add_f64_e32 v[176:177], v[46:47], v[44:45]
	s_delay_alu instid0(VALU_DEP_2) | instskip(SKIP_1) | instid1(VALU_DEP_2)
	v_fma_f64 v[44:45], v[26:27], s[16:17], -v[42:43]
	v_fma_f64 v[26:27], v[26:27], s[16:17], v[42:43]
	v_add_f64_e32 v[40:41], v[44:45], v[40:41]
	v_mul_f64_e32 v[44:45], s[36:37], v[72:73]
	s_delay_alu instid0(VALU_DEP_3) | instskip(NEXT) | instid1(VALU_DEP_2)
	v_add_f64_e32 v[24:25], v[26:27], v[24:25]
	v_fma_f64 v[46:47], v[28:29], s[16:17], v[44:45]
	v_fma_f64 v[28:29], v[28:29], s[16:17], -v[44:45]
	s_delay_alu instid0(VALU_DEP_2) | instskip(SKIP_1) | instid1(VALU_DEP_3)
	v_add_f64_e32 v[36:37], v[46:47], v[36:37]
	v_mul_f64_e32 v[46:47], s[22:23], v[76:77]
	v_add_f64_e32 v[26:27], v[28:29], v[34:35]
	s_delay_alu instid0(VALU_DEP_2) | instskip(SKIP_1) | instid1(VALU_DEP_2)
	v_fma_f64 v[72:73], v[16:17], s[18:19], -v[46:47]
	v_fma_f64 v[16:17], v[16:17], s[18:19], v[46:47]
	v_add_f64_e32 v[40:41], v[72:73], v[40:41]
	v_fma_f64 v[72:73], v[18:19], s[18:19], v[38:39]
	v_fma_f64 v[18:19], v[18:19], s[18:19], -v[38:39]
	s_delay_alu instid0(VALU_DEP_4) | instskip(NEXT) | instid1(VALU_DEP_3)
	v_add_f64_e32 v[16:17], v[16:17], v[24:25]
	v_add_f64_e32 v[36:37], v[72:73], v[36:37]
	v_fma_f64 v[72:73], v[12:13], s[14:15], -v[32:33]
	s_delay_alu instid0(VALU_DEP_4) | instskip(SKIP_1) | instid1(VALU_DEP_3)
	v_add_f64_e32 v[18:19], v[18:19], v[26:27]
	v_fma_f64 v[12:13], v[12:13], s[14:15], v[32:33]
	v_add_f64_e32 v[40:41], v[72:73], v[40:41]
	v_fma_f64 v[72:73], v[14:15], s[14:15], v[30:31]
	v_fma_f64 v[14:15], v[14:15], s[14:15], -v[30:31]
	s_delay_alu instid0(VALU_DEP_4) | instskip(NEXT) | instid1(VALU_DEP_3)
	v_add_f64_e32 v[12:13], v[12:13], v[16:17]
	v_add_f64_e32 v[36:37], v[72:73], v[36:37]
	v_fma_f64 v[72:73], v[8:9], s[8:9], -v[22:23]
	s_delay_alu instid0(VALU_DEP_4) | instskip(SKIP_1) | instid1(VALU_DEP_3)
	v_add_f64_e32 v[14:15], v[14:15], v[18:19]
	;; [unrolled: 10-line block ×3, first 2 shown]
	v_fma_f64 v[2:3], v[4:5], s[2:3], v[2:3]
	v_add_f64_e32 v[180:181], v[72:73], v[40:41]
	v_fma_f64 v[40:41], v[6:7], s[2:3], v[0:1]
	v_fma_f64 v[0:1], v[6:7], s[2:3], -v[0:1]
	s_delay_alu instid0(VALU_DEP_4) | instskip(SKIP_1) | instid1(VALU_DEP_3)
	v_add_f64_e32 v[184:185], v[2:3], v[8:9]
	s_load_b64 s[2:3], s[0:1], 0x8
	v_add_f64_e32 v[182:183], v[40:41], v[36:37]
	s_delay_alu instid0(VALU_DEP_3) | instskip(SKIP_1) | instid1(VALU_DEP_1)
	v_add_f64_e32 v[186:187], v[0:1], v[10:11]
	v_mul_lo_u16 v0, v126, 13
	v_and_b32_e32 v0, 0xffff, v0
	s_delay_alu instid0(VALU_DEP_1)
	v_lshl_add_u32 v47, v0, 4, v219
	v_add_co_u32 v0, s0, v126, 39
	s_wait_alu 0xf1ff
	v_add_co_ci_u32_e64 v1, null, 0, 0, s0
	ds_store_b128 v47, v[108:111]
	ds_store_b128 v47, v[52:55] offset:16
	ds_store_b128 v47, v[60:63] offset:32
	;; [unrolled: 1-line block ×11, first 2 shown]
	v_mul_u32_u24_e32 v1, 13, v0
	ds_store_b128 v47, v[92:95] offset:192
	scratch_store_b32 off, v1, off offset:256 ; 4-byte Folded Spill
	s_and_saveexec_b32 s0, vcc_lo
	s_cbranch_execz .LBB0_7
; %bb.6:
	v_mul_u32_u24_e32 v1, 13, v0
	s_delay_alu instid0(VALU_DEP_1)
	v_lshl_add_u32 v1, v1, 4, v219
	ds_store_b128 v1, v[96:99]
	ds_store_b128 v1, v[100:103] offset:16
	ds_store_b128 v1, v[144:147] offset:32
	;; [unrolled: 1-line block ×12, first 2 shown]
.LBB0_7:
	s_wait_alu 0xfffe
	s_or_b32 exec_lo, exec_lo, s0
	global_wb scope:SCOPE_SE
	s_wait_storecnt_dscnt 0x0
	s_wait_kmcnt 0x0
	s_barrier_signal -1
	s_barrier_wait -1
	global_inv scope:SCOPE_SE
	ds_load_b128 v[116:119], v255
	ds_load_b128 v[112:115], v255 offset:624
	ds_load_b128 v[72:75], v255 offset:2912
	;; [unrolled: 1-line block ×11, first 2 shown]
	v_cmp_gt_u16_e64 s0, 26, v126
	s_delay_alu instid0(VALU_DEP_1)
	s_and_saveexec_b32 s1, s0
	s_cbranch_execz .LBB0_9
; %bb.8:
	ds_load_b128 v[92:95], v255 offset:2496
	ds_load_b128 v[96:99], v255 offset:5408
	;; [unrolled: 1-line block ×3, first 2 shown]
.LBB0_9:
	s_wait_alu 0xfffe
	s_or_b32 exec_lo, exec_lo, s1
	v_and_b32_e32 v1, 0xff, v126
	s_mov_b32 s8, 0xe8584caa
	s_mov_b32 s9, 0x3febb67a
	;; [unrolled: 1-line block ×3, first 2 shown]
	s_wait_alu 0xfffe
	s_mov_b32 s14, s8
	v_mul_lo_u16 v1, 0x4f, v1
	s_delay_alu instid0(VALU_DEP_1) | instskip(NEXT) | instid1(VALU_DEP_1)
	v_lshrrev_b16 v8, 10, v1
	v_mul_lo_u16 v1, v8, 13
	v_and_b32_e32 v8, 0xffff, v8
	s_delay_alu instid0(VALU_DEP_2) | instskip(NEXT) | instid1(VALU_DEP_2)
	v_sub_nc_u16 v1, v126, v1
	v_mul_u32_u24_e32 v8, 39, v8
	s_delay_alu instid0(VALU_DEP_2) | instskip(NEXT) | instid1(VALU_DEP_1)
	v_and_b32_e32 v48, 0xff, v1
	v_lshlrev_b32_e32 v1, 5, v48
	s_delay_alu instid0(VALU_DEP_3)
	v_add_nc_u32_e32 v8, v8, v48
	s_clause 0x1
	global_load_b128 v[3:6], v1, s[2:3]
	global_load_b128 v[64:67], v1, s[2:3] offset:16
	v_lshl_add_u32 v8, v8, 4, v219
	s_wait_loadcnt_dscnt 0x109
	v_mul_f64_e32 v[1:2], v[74:75], v[5:6]
	scratch_store_b128 off, v[3:6], off offset:220 ; 16-byte Folded Spill
	v_fma_f64 v[13:14], v[72:73], v[3:4], -v[1:2]
	v_mul_f64_e32 v[1:2], v[72:73], v[5:6]
	s_delay_alu instid0(VALU_DEP_2) | instskip(NEXT) | instid1(VALU_DEP_2)
	v_add_f64_e32 v[31:32], v[116:117], v[13:14]
	v_fma_f64 v[9:10], v[74:75], v[3:4], v[1:2]
	s_wait_loadcnt_dscnt 0x7
	v_mul_f64_e32 v[1:2], v[70:71], v[66:67]
	s_delay_alu instid0(VALU_DEP_2) | instskip(NEXT) | instid1(VALU_DEP_2)
	v_add_f64_e32 v[29:30], v[118:119], v[9:10]
	v_fma_f64 v[15:16], v[68:69], v[64:65], -v[1:2]
	v_mul_f64_e32 v[1:2], v[68:69], v[66:67]
	s_delay_alu instid0(VALU_DEP_1) | instskip(SKIP_1) | instid1(VALU_DEP_1)
	v_fma_f64 v[11:12], v[70:71], v[64:65], v[1:2]
	v_and_b32_e32 v1, 0xff, v0
	v_mul_lo_u16 v1, 0x4f, v1
	s_delay_alu instid0(VALU_DEP_1) | instskip(NEXT) | instid1(VALU_DEP_1)
	v_lshrrev_b16 v49, 10, v1
	v_mul_lo_u16 v1, v49, 13
	s_delay_alu instid0(VALU_DEP_1) | instskip(NEXT) | instid1(VALU_DEP_1)
	v_sub_nc_u16 v0, v0, v1
	v_and_b32_e32 v50, 0xff, v0
	s_delay_alu instid0(VALU_DEP_1)
	v_lshlrev_b32_e32 v0, 5, v50
	s_clause 0x1
	global_load_b128 v[68:71], v0, s[2:3]
	global_load_b128 v[72:75], v0, s[2:3] offset:16
	v_add_f64_e64 v[41:42], v[9:10], -v[11:12]
	s_wait_loadcnt 0x1
	v_mul_f64_e32 v[0:1], v[82:83], v[70:71]
	s_delay_alu instid0(VALU_DEP_1) | instskip(SKIP_1) | instid1(VALU_DEP_2)
	v_fma_f64 v[25:26], v[80:81], v[68:69], -v[0:1]
	v_mul_f64_e32 v[0:1], v[80:81], v[70:71]
	v_add_f64_e32 v[43:44], v[112:113], v[25:26]
	s_delay_alu instid0(VALU_DEP_2) | instskip(SKIP_2) | instid1(VALU_DEP_1)
	v_fma_f64 v[21:22], v[82:83], v[68:69], v[0:1]
	s_wait_loadcnt_dscnt 0x6
	v_mul_f64_e32 v[0:1], v[78:79], v[74:75]
	v_fma_f64 v[27:28], v[76:77], v[72:73], -v[0:1]
	v_mul_f64_e32 v[0:1], v[76:77], v[74:75]
	s_delay_alu instid0(VALU_DEP_1) | instskip(SKIP_1) | instid1(VALU_DEP_1)
	v_fma_f64 v[23:24], v[78:79], v[72:73], v[0:1]
	v_add_nc_u16 v0, v126, 0x4e
	v_and_b32_e32 v1, 0xff, v0
	s_delay_alu instid0(VALU_DEP_1) | instskip(NEXT) | instid1(VALU_DEP_1)
	v_mul_lo_u16 v1, 0x4f, v1
	v_lshrrev_b16 v51, 10, v1
	s_delay_alu instid0(VALU_DEP_1) | instskip(NEXT) | instid1(VALU_DEP_1)
	v_mul_lo_u16 v1, v51, 13
	v_sub_nc_u16 v0, v0, v1
	s_delay_alu instid0(VALU_DEP_1) | instskip(NEXT) | instid1(VALU_DEP_1)
	v_and_b32_e32 v60, 0xff, v0
	v_lshlrev_b32_e32 v0, 5, v60
	s_clause 0x1
	global_load_b128 v[76:79], v0, s[2:3]
	global_load_b128 v[80:83], v0, s[2:3] offset:16
	s_wait_loadcnt_dscnt 0x103
	v_mul_f64_e32 v[0:1], v[90:91], v[78:79]
	s_delay_alu instid0(VALU_DEP_1) | instskip(SKIP_1) | instid1(VALU_DEP_1)
	v_fma_f64 v[37:38], v[88:89], v[76:77], -v[0:1]
	v_mul_f64_e32 v[0:1], v[88:89], v[78:79]
	v_fma_f64 v[33:34], v[90:91], v[76:77], v[0:1]
	s_wait_loadcnt_dscnt 0x1
	v_mul_f64_e32 v[0:1], v[86:87], v[82:83]
	s_delay_alu instid0(VALU_DEP_1) | instskip(SKIP_1) | instid1(VALU_DEP_1)
	v_fma_f64 v[39:40], v[84:85], v[80:81], -v[0:1]
	v_mul_f64_e32 v[0:1], v[84:85], v[82:83]
	v_fma_f64 v[35:36], v[86:87], v[80:81], v[0:1]
	v_add_nc_u16 v0, v126, 0x75
	s_delay_alu instid0(VALU_DEP_1) | instskip(NEXT) | instid1(VALU_DEP_1)
	v_and_b32_e32 v1, 0xff, v0
	v_mul_lo_u16 v1, 0x4f, v1
	s_delay_alu instid0(VALU_DEP_1) | instskip(NEXT) | instid1(VALU_DEP_1)
	v_lshrrev_b16 v61, 10, v1
	v_mul_lo_u16 v1, v61, 13
	s_delay_alu instid0(VALU_DEP_1) | instskip(NEXT) | instid1(VALU_DEP_1)
	v_sub_nc_u16 v0, v0, v1
	v_and_b32_e32 v62, 0xff, v0
	s_delay_alu instid0(VALU_DEP_1)
	v_lshlrev_b32_e32 v0, 5, v62
	s_clause 0x1
	global_load_b128 v[84:87], v0, s[2:3]
	global_load_b128 v[88:91], v0, s[2:3] offset:16
	s_wait_loadcnt 0x1
	v_mul_f64_e32 v[0:1], v[58:59], v[86:87]
	s_delay_alu instid0(VALU_DEP_1) | instskip(SKIP_1) | instid1(VALU_DEP_1)
	v_fma_f64 v[45:46], v[56:57], v[84:85], -v[0:1]
	v_mul_f64_e32 v[0:1], v[56:57], v[86:87]
	v_fma_f64 v[120:121], v[58:59], v[84:85], v[0:1]
	s_wait_loadcnt_dscnt 0x0
	v_mul_f64_e32 v[0:1], v[54:55], v[90:91]
	s_delay_alu instid0(VALU_DEP_1) | instskip(SKIP_1) | instid1(VALU_DEP_1)
	v_fma_f64 v[122:123], v[52:53], v[88:89], -v[0:1]
	v_mul_f64_e32 v[0:1], v[52:53], v[90:91]
	v_fma_f64 v[124:125], v[54:55], v[88:89], v[0:1]
	v_add_nc_u16 v0, v126, 0x9c
	s_delay_alu instid0(VALU_DEP_1) | instskip(NEXT) | instid1(VALU_DEP_1)
	v_and_b32_e32 v1, 0xff, v0
	v_mul_lo_u16 v1, 0x4f, v1
	s_delay_alu instid0(VALU_DEP_1) | instskip(NEXT) | instid1(VALU_DEP_1)
	v_lshrrev_b16 v52, 10, v1
	v_mul_lo_u16 v1, v52, 13
	s_delay_alu instid0(VALU_DEP_1) | instskip(NEXT) | instid1(VALU_DEP_1)
	v_sub_nc_u16 v0, v0, v1
	v_and_b32_e32 v0, 0xff, v0
	scratch_store_b32 off, v0, off offset:216 ; 4-byte Folded Spill
	v_lshlrev_b32_e32 v0, 5, v0
	s_clause 0x1
	global_load_b128 v[4:7], v0, s[2:3]
	global_load_b128 v[17:20], v0, s[2:3] offset:16
	s_wait_loadcnt 0x1
	v_mul_f64_e32 v[0:1], v[98:99], v[6:7]
	v_mul_f64_e32 v[2:3], v[96:97], v[6:7]
	scratch_store_b128 off, v[4:7], off offset:260 ; 16-byte Folded Spill
	s_wait_loadcnt 0x0
	scratch_store_b128 off, v[17:20], off offset:276 ; 16-byte Folded Spill
	global_wb scope:SCOPE_SE
	s_wait_storecnt 0x0
	s_barrier_signal -1
	s_barrier_wait -1
	global_inv scope:SCOPE_SE
	v_fma_f64 v[0:1], v[96:97], v[4:5], -v[0:1]
	v_fma_f64 v[6:7], v[98:99], v[4:5], v[2:3]
	v_mul_f64_e32 v[2:3], v[102:103], v[19:20]
	v_mul_f64_e32 v[4:5], v[100:101], v[19:20]
	v_add_f64_e32 v[19:20], v[9:10], v[11:12]
	v_add_f64_e32 v[11:12], v[29:30], v[11:12]
	v_add_f64_e64 v[29:30], v[13:14], -v[15:16]
	v_add_f64_e32 v[9:10], v[31:32], v[15:16]
	v_add_f64_e64 v[96:97], v[21:22], -v[23:24]
	v_add_f64_e32 v[31:32], v[21:22], v[23:24]
	v_add_f64_e32 v[98:99], v[108:109], v[37:38]
	v_fma_f64 v[2:3], v[100:101], v[17:18], -v[2:3]
	v_fma_f64 v[4:5], v[102:103], v[17:18], v[4:5]
	v_add_f64_e32 v[17:18], v[13:14], v[15:16]
	v_fma_f64 v[19:20], v[19:20], -0.5, v[118:119]
	v_add_f64_e64 v[100:101], v[33:34], -v[35:36]
	v_fma_f64 v[31:32], v[31:32], -0.5, v[114:115]
	s_delay_alu instid0(VALU_DEP_4) | instskip(SKIP_1) | instid1(VALU_DEP_4)
	v_fma_f64 v[17:18], v[17:18], -0.5, v[116:117]
	s_wait_alu 0xfffe
	v_fma_f64 v[15:16], v[29:30], s[14:15], v[19:20]
	v_fma_f64 v[19:20], v[29:30], s[8:9], v[19:20]
	v_add_f64_e32 v[29:30], v[25:26], v[27:28]
	s_delay_alu instid0(VALU_DEP_4) | instskip(SKIP_2) | instid1(VALU_DEP_4)
	v_fma_f64 v[13:14], v[41:42], s[8:9], v[17:18]
	v_fma_f64 v[17:18], v[41:42], s[14:15], v[17:18]
	v_add_f64_e32 v[41:42], v[114:115], v[21:22]
	v_fma_f64 v[29:30], v[29:30], -0.5, v[112:113]
	v_add_f64_e32 v[21:22], v[43:44], v[27:28]
	v_add_f64_e32 v[43:44], v[33:34], v[35:36]
	ds_store_b128 v8, v[9:12]
	ds_store_b128 v8, v[13:16] offset:208
	scratch_store_b32 off, v8, off offset:252 ; 4-byte Folded Spill
	ds_store_b128 v8, v[17:20] offset:416
	v_add_f64_e32 v[23:24], v[41:42], v[23:24]
	v_add_f64_e64 v[41:42], v[25:26], -v[27:28]
	v_fma_f64 v[25:26], v[96:97], s[8:9], v[29:30]
	v_fma_f64 v[29:30], v[96:97], s[14:15], v[29:30]
	v_add_f64_e32 v[96:97], v[110:111], v[33:34]
	v_fma_f64 v[43:44], v[43:44], -0.5, v[110:111]
	v_add_f64_e32 v[33:34], v[98:99], v[39:40]
	v_and_b32_e32 v8, 0xffff, v49
	v_add_f64_e32 v[10:11], v[6:7], v[4:5]
	v_and_b32_e32 v16, 0xffff, v52
	v_add_f64_e64 v[12:13], v[6:7], -v[4:5]
	v_add_f64_e64 v[14:15], v[0:1], -v[2:3]
	v_mul_u32_u24_e32 v8, 39, v8
	s_delay_alu instid0(VALU_DEP_1) | instskip(NEXT) | instid1(VALU_DEP_1)
	v_add_nc_u32_e32 v8, v8, v50
	v_lshl_add_u32 v8, v8, 4, v219
	v_fma_f64 v[27:28], v[41:42], s[14:15], v[31:32]
	v_fma_f64 v[31:32], v[41:42], s[8:9], v[31:32]
	v_add_f64_e32 v[41:42], v[37:38], v[39:40]
	v_add_f64_e32 v[35:36], v[96:97], v[35:36]
	v_add_f64_e64 v[96:97], v[37:38], -v[39:40]
	ds_store_b128 v8, v[21:24]
	ds_store_b128 v8, v[25:28] offset:208
	scratch_store_b32 off, v8, off offset:248 ; 4-byte Folded Spill
	ds_store_b128 v8, v[29:32] offset:416
	v_fma_f64 v[41:42], v[41:42], -0.5, v[108:109]
	v_and_b32_e32 v8, 0xffff, v51
	v_fma_f64 v[39:40], v[96:97], s[14:15], v[43:44]
	v_fma_f64 v[43:44], v[96:97], s[8:9], v[43:44]
	v_add_f64_e32 v[96:97], v[45:46], v[122:123]
	v_fma_f64 v[10:11], v[10:11], -0.5, v[94:95]
	v_mul_u32_u24_e32 v8, 39, v8
	s_delay_alu instid0(VALU_DEP_1) | instskip(NEXT) | instid1(VALU_DEP_1)
	v_add_nc_u32_e32 v8, v8, v60
	v_lshl_add_u32 v8, v8, 4, v219
	v_fma_f64 v[37:38], v[100:101], s[8:9], v[41:42]
	v_fma_f64 v[41:42], v[100:101], s[14:15], v[41:42]
	v_add_f64_e32 v[100:101], v[104:105], v[45:46]
	v_add_f64_e64 v[45:46], v[45:46], -v[122:123]
	v_fma_f64 v[102:103], v[96:97], -0.5, v[104:105]
	v_add_f64_e32 v[96:97], v[120:121], v[124:125]
	v_add_f64_e64 v[104:105], v[120:121], -v[124:125]
	v_fma_f64 v[194:195], v[14:15], s[8:9], v[10:11]
	ds_store_b128 v8, v[33:36]
	ds_store_b128 v8, v[37:40] offset:208
	scratch_store_b32 off, v8, off offset:244 ; 4-byte Folded Spill
	ds_store_b128 v8, v[41:44] offset:416
	v_and_b32_e32 v8, 0xffff, v61
	v_fma_f64 v[108:109], v[96:97], -0.5, v[106:107]
	v_add_f64_e32 v[96:97], v[106:107], v[120:121]
	s_delay_alu instid0(VALU_DEP_3) | instskip(NEXT) | instid1(VALU_DEP_1)
	v_mul_u32_u24_e32 v8, 39, v8
	v_add_nc_u32_e32 v8, v8, v62
	s_delay_alu instid0(VALU_DEP_1)
	v_lshl_add_u32 v8, v8, 4, v219
	v_fma_f64 v[106:107], v[45:46], s[8:9], v[108:109]
	v_add_f64_e32 v[98:99], v[96:97], v[124:125]
	v_add_f64_e32 v[96:97], v[100:101], v[122:123]
	v_fma_f64 v[100:101], v[104:105], s[8:9], v[102:103]
	v_fma_f64 v[104:105], v[104:105], s[14:15], v[102:103]
	;; [unrolled: 1-line block ×3, first 2 shown]
	ds_store_b128 v8, v[96:99]
	ds_store_b128 v8, v[100:103] offset:208
	s_clause 0x1
	scratch_store_b32 off, v8, off offset:240
	scratch_store_b32 off, v16, off offset:236
	ds_store_b128 v8, v[104:107] offset:416
	v_add_f64_e32 v[8:9], v[0:1], v[2:3]
	s_delay_alu instid0(VALU_DEP_1) | instskip(NEXT) | instid1(VALU_DEP_1)
	v_fma_f64 v[8:9], v[8:9], -0.5, v[92:93]
	v_fma_f64 v[192:193], v[12:13], s[14:15], v[8:9]
	s_and_saveexec_b32 s1, s0
	s_cbranch_execz .LBB0_11
; %bb.10:
	v_mul_f64_e32 v[14:15], s[8:9], v[14:15]
	v_add_f64_e32 v[0:1], v[92:93], v[0:1]
	v_add_f64_e32 v[16:17], v[94:95], v[6:7]
	v_mul_f64_e32 v[18:19], s[8:9], v[12:13]
	s_delay_alu instid0(VALU_DEP_4) | instskip(NEXT) | instid1(VALU_DEP_4)
	v_add_f64_e64 v[6:7], v[10:11], -v[14:15]
	v_add_f64_e32 v[10:11], v[0:1], v[2:3]
	s_clause 0x1
	scratch_load_b32 v0, off, off offset:236
	scratch_load_b32 v1, off, off offset:216
	v_add_f64_e32 v[12:13], v[16:17], v[4:5]
	v_add_f64_e32 v[4:5], v[18:19], v[8:9]
	s_wait_loadcnt 0x1
	v_mul_u32_u24_e32 v0, 39, v0
	s_wait_loadcnt 0x0
	s_delay_alu instid0(VALU_DEP_1) | instskip(NEXT) | instid1(VALU_DEP_1)
	v_add_nc_u32_e32 v0, v0, v1
	v_lshl_add_u32 v0, v0, 4, v219
	ds_store_b128 v0, v[10:13]
	ds_store_b128 v0, v[4:7] offset:208
	ds_store_b128 v0, v[192:195] offset:416
.LBB0_11:
	s_wait_alu 0xfffe
	s_or_b32 exec_lo, exec_lo, s1
	v_mad_co_u64_u32 v[0:1], null, 0x60, v126, s[2:3]
	global_wb scope:SCOPE_SE
	s_wait_storecnt_dscnt 0x0
	s_barrier_signal -1
	s_barrier_wait -1
	global_inv scope:SCOPE_SE
	v_mov_b32_e32 v46, v126
	s_mov_b32 s20, 0xe976ee23
	s_clause 0x3
	global_load_b128 v[96:99], v[0:1], off offset:416
	global_load_b128 v[92:95], v[0:1], off offset:432
	;; [unrolled: 1-line block ×4, first 2 shown]
	ds_load_b128 v[2:5], v255 offset:1248
	ds_load_b128 v[6:9], v255 offset:1872
	;; [unrolled: 1-line block ×4, first 2 shown]
	s_mov_b32 s21, 0xbfe11646
	s_mov_b32 s8, 0x429ad128
	;; [unrolled: 1-line block ×17, first 2 shown]
	s_wait_alu 0xfffe
	s_mov_b32 s28, s22
	s_mov_b32 s26, s18
	v_mov_b32_e32 v48, v219
	s_wait_loadcnt_dscnt 0x303
	v_mul_f64_e32 v[18:19], v[4:5], v[98:99]
	v_mul_f64_e32 v[20:21], v[2:3], v[98:99]
	s_delay_alu instid0(VALU_DEP_2) | instskip(NEXT) | instid1(VALU_DEP_2)
	v_fma_f64 v[22:23], v[2:3], v[96:97], -v[18:19]
	v_fma_f64 v[24:25], v[4:5], v[96:97], v[20:21]
	s_wait_loadcnt_dscnt 0x201
	v_mul_f64_e32 v[2:3], v[12:13], v[94:95]
	v_mul_f64_e32 v[4:5], v[10:11], v[94:95]
	s_delay_alu instid0(VALU_DEP_2) | instskip(NEXT) | instid1(VALU_DEP_2)
	v_fma_f64 v[26:27], v[10:11], v[92:93], -v[2:3]
	v_fma_f64 v[28:29], v[12:13], v[92:93], v[4:5]
	ds_load_b128 v[2:5], v255 offset:7488
	ds_load_b128 v[10:13], v255 offset:8112
	s_wait_loadcnt_dscnt 0x101
	v_mul_f64_e32 v[18:19], v[4:5], v[102:103]
	s_delay_alu instid0(VALU_DEP_1) | instskip(SKIP_1) | instid1(VALU_DEP_2)
	v_fma_f64 v[30:31], v[2:3], v[100:101], -v[18:19]
	v_mul_f64_e32 v[2:3], v[2:3], v[102:103]
	v_add_f64_e32 v[132:133], v[22:23], v[30:31]
	s_delay_alu instid0(VALU_DEP_2)
	v_fma_f64 v[32:33], v[4:5], v[100:101], v[2:3]
	ds_load_b128 v[2:5], v255 offset:6240
	ds_load_b128 v[18:21], v255 offset:6864
	s_clause 0x1
	global_load_b128 v[108:111], v[0:1], off offset:448
	global_load_b128 v[112:115], v[0:1], off offset:464
	v_add_f64_e64 v[22:23], v[22:23], -v[30:31]
	s_wait_loadcnt_dscnt 0x201
	v_mul_f64_e32 v[34:35], v[4:5], v[106:107]
	v_add_f64_e32 v[136:137], v[24:25], v[32:33]
	v_add_f64_e64 v[24:25], v[24:25], -v[32:33]
	s_delay_alu instid0(VALU_DEP_3) | instskip(SKIP_1) | instid1(VALU_DEP_1)
	v_fma_f64 v[34:35], v[2:3], v[104:105], -v[34:35]
	v_mul_f64_e32 v[2:3], v[2:3], v[106:107]
	v_fma_f64 v[36:37], v[4:5], v[104:105], v[2:3]
	v_mul_f64_e32 v[2:3], v[8:9], v[98:99]
	s_delay_alu instid0(VALU_DEP_2) | instskip(NEXT) | instid1(VALU_DEP_2)
	v_add_f64_e32 v[138:139], v[28:29], v[36:37]
	v_fma_f64 v[38:39], v[6:7], v[96:97], -v[2:3]
	v_mul_f64_e32 v[2:3], v[6:7], v[98:99]
	s_delay_alu instid0(VALU_DEP_1) | instskip(SKIP_1) | instid1(VALU_DEP_1)
	v_fma_f64 v[40:41], v[8:9], v[96:97], v[2:3]
	v_mul_f64_e32 v[2:3], v[16:17], v[94:95]
	v_fma_f64 v[42:43], v[14:15], v[92:93], -v[2:3]
	v_mul_f64_e32 v[2:3], v[14:15], v[94:95]
	s_delay_alu instid0(VALU_DEP_1) | instskip(SKIP_1) | instid1(VALU_DEP_1)
	v_fma_f64 v[44:45], v[16:17], v[92:93], v[2:3]
	v_mul_f64_e32 v[2:3], v[12:13], v[102:103]
	v_fma_f64 v[116:117], v[10:11], v[100:101], -v[2:3]
	v_mul_f64_e32 v[2:3], v[10:11], v[102:103]
	s_delay_alu instid0(VALU_DEP_2) | instskip(NEXT) | instid1(VALU_DEP_2)
	v_add_f64_e32 v[188:189], v[38:39], v[116:117]
	v_fma_f64 v[118:119], v[12:13], v[100:101], v[2:3]
	s_wait_dscnt 0x0
	v_mul_f64_e32 v[2:3], v[20:21], v[106:107]
	v_add_f64_e64 v[116:117], v[38:39], -v[116:117]
	s_delay_alu instid0(VALU_DEP_3) | instskip(NEXT) | instid1(VALU_DEP_3)
	v_add_f64_e32 v[201:202], v[40:41], v[118:119]
	v_fma_f64 v[120:121], v[18:19], v[104:105], -v[2:3]
	v_mul_f64_e32 v[2:3], v[18:19], v[106:107]
	v_add_f64_e64 v[118:119], v[40:41], -v[118:119]
	s_delay_alu instid0(VALU_DEP_3) | instskip(NEXT) | instid1(VALU_DEP_3)
	v_add_f64_e32 v[190:191], v[42:43], v[120:121]
	v_fma_f64 v[122:123], v[20:21], v[104:105], v[2:3]
	ds_load_b128 v[2:5], v255 offset:3744
	ds_load_b128 v[6:9], v255 offset:4368
	s_wait_loadcnt_dscnt 0x101
	v_mul_f64_e32 v[10:11], v[4:5], v[110:111]
	v_add_f64_e32 v[199:200], v[190:191], v[188:189]
	v_add_f64_e32 v[203:204], v[44:45], v[122:123]
	s_delay_alu instid0(VALU_DEP_3) | instskip(SKIP_1) | instid1(VALU_DEP_3)
	v_fma_f64 v[14:15], v[2:3], v[108:109], -v[10:11]
	v_mul_f64_e32 v[2:3], v[2:3], v[110:111]
	v_add_f64_e32 v[207:208], v[203:204], v[201:202]
	s_delay_alu instid0(VALU_DEP_2) | instskip(SKIP_4) | instid1(VALU_DEP_1)
	v_fma_f64 v[16:17], v[4:5], v[108:109], v[2:3]
	ds_load_b128 v[2:5], v255 offset:4992
	ds_load_b128 v[10:13], v255 offset:5616
	s_wait_loadcnt_dscnt 0x1
	v_mul_f64_e32 v[18:19], v[4:5], v[114:115]
	v_fma_f64 v[18:19], v[2:3], v[112:113], -v[18:19]
	v_mul_f64_e32 v[2:3], v[2:3], v[114:115]
	s_delay_alu instid0(VALU_DEP_2) | instskip(NEXT) | instid1(VALU_DEP_2)
	v_add_f64_e32 v[134:135], v[14:15], v[18:19]
	v_fma_f64 v[20:21], v[4:5], v[112:113], v[2:3]
	v_mul_f64_e32 v[2:3], v[8:9], v[110:111]
	v_add_f64_e64 v[18:19], v[18:19], -v[14:15]
	v_add_f64_e64 v[14:15], v[28:29], -v[36:37]
	s_delay_alu instid0(VALU_DEP_4) | instskip(NEXT) | instid1(VALU_DEP_4)
	v_add_f64_e32 v[140:141], v[16:17], v[20:21]
	v_fma_f64 v[124:125], v[6:7], v[108:109], -v[2:3]
	v_mul_f64_e32 v[2:3], v[6:7], v[110:111]
	v_add_f64_e64 v[20:21], v[20:21], -v[16:17]
	v_add_f64_e64 v[32:33], v[14:15], -v[24:25]
	;; [unrolled: 1-line block ×3, first 2 shown]
	s_delay_alu instid0(VALU_DEP_4) | instskip(SKIP_4) | instid1(VALU_DEP_3)
	v_fma_f64 v[126:127], v[8:9], v[108:109], v[2:3]
	s_wait_dscnt 0x0
	v_mul_f64_e32 v[2:3], v[12:13], v[114:115]
	v_add_f64_e64 v[30:31], v[20:21], -v[14:15]
	v_add_f64_e32 v[14:15], v[20:21], v[14:15]
	v_fma_f64 v[128:129], v[10:11], v[112:113], -v[2:3]
	v_mul_f64_e32 v[2:3], v[10:11], v[114:115]
	v_add_f64_e32 v[10:11], v[26:27], v[34:35]
	v_add_f64_e64 v[26:27], v[26:27], -v[34:35]
	v_mul_f64_e32 v[30:31], s[20:21], v[30:31]
	v_add_f64_e32 v[213:214], v[14:15], v[24:25]
	v_mul_f64_e32 v[14:15], s[2:3], v[209:210]
	v_add_f64_e32 v[197:198], v[124:125], v[128:129]
	v_fma_f64 v[130:131], v[12:13], v[112:113], v[2:3]
	v_add_f64_e32 v[2:3], v[10:11], v[132:133]
	v_add_f64_e64 v[16:17], v[18:19], -v[26:27]
	v_add_f64_e64 v[28:29], v[26:27], -v[22:23]
	v_add_f64_e32 v[26:27], v[18:19], v[26:27]
	v_add_f64_e64 v[34:35], v[134:135], -v[10:11]
	v_add_f64_e64 v[36:37], v[10:11], -v[132:133]
	;; [unrolled: 1-line block ×3, first 2 shown]
	v_add_f64_e32 v[199:200], v[197:198], v[199:200]
	v_add_f64_e32 v[205:206], v[126:127], v[130:131]
	;; [unrolled: 1-line block ×4, first 2 shown]
	v_mul_f64_e32 v[211:212], s[20:21], v[16:17]
	v_add_f64_e32 v[26:27], v[26:27], v[22:23]
	v_add_f64_e64 v[134:135], v[136:137], -v[140:141]
	v_add_f64_e64 v[138:139], v[138:139], -v[136:137]
	;; [unrolled: 1-line block ×3, first 2 shown]
	v_mul_f64_e32 v[18:19], s[8:9], v[28:29]
	v_mul_f64_e32 v[10:11], s[2:3], v[34:35]
	v_add_f64_e32 v[207:208], v[205:206], v[207:208]
	v_add_f64_e32 v[142:143], v[140:141], v[2:3]
	ds_load_b128 v[2:5], v255
	ds_load_b128 v[6:9], v255 offset:624
	v_add_f64_e64 v[140:141], v[24:25], -v[20:21]
	v_mul_f64_e32 v[20:21], s[8:9], v[32:33]
	v_fma_f64 v[14:15], v[138:139], s[18:19], -v[14:15]
	global_wb scope:SCOPE_SE
	s_wait_dscnt 0x0
	s_wait_alu 0xfffe
	v_fma_f64 v[18:19], v[136:137], s[28:29], -v[18:19]
	v_fma_f64 v[10:11], v[36:37], s[18:19], -v[10:11]
	s_barrier_signal -1
	s_barrier_wait -1
	global_inv scope:SCOPE_SE
	v_add_f64_e32 v[2:3], v[2:3], v[12:13]
	v_add_f64_e32 v[6:7], v[6:7], v[199:200]
	;; [unrolled: 1-line block ×4, first 2 shown]
	v_fma_f64 v[20:21], v[140:141], s[28:29], -v[20:21]
	v_fma_f64 v[215:216], v[12:13], s[16:17], v[2:3]
	v_fma_f64 v[12:13], v[28:29], s[8:9], -v[211:212]
	v_mul_f64_e32 v[28:29], s[24:25], v[132:133]
	v_fma_f64 v[142:143], v[142:143], s[16:17], v[4:5]
	v_fma_f64 v[132:133], v[213:214], s[14:15], v[20:21]
	v_add_f64_e32 v[219:220], v[10:11], v[215:216]
	v_fma_f64 v[16:17], v[26:27], s[14:15], v[12:13]
	v_fma_f64 v[12:13], v[32:33], s[8:9], -v[30:31]
	v_mul_f64_e32 v[32:33], s[24:25], v[134:135]
	v_fma_f64 v[22:23], v[36:37], s[26:27], -v[28:29]
	v_fma_f64 v[36:37], v[26:27], s[14:15], v[18:19]
	v_fma_f64 v[30:31], v[140:141], s[22:23], v[30:31]
	;; [unrolled: 1-line block ×4, first 2 shown]
	v_add_f64_e32 v[221:222], v[14:15], v[142:143]
	v_fma_f64 v[217:218], v[213:214], s[14:15], v[12:13]
	v_fma_f64 v[24:25], v[138:139], s[26:27], -v[32:33]
	v_fma_f64 v[32:33], v[209:210], s[2:3], v[32:33]
	v_add_f64_e32 v[22:23], v[22:23], v[215:216]
	v_fma_f64 v[30:31], v[213:214], s[14:15], v[30:31]
	v_add_f64_e32 v[12:13], v[16:17], v[221:222]
	v_add_f64_e64 v[16:17], v[221:222], -v[16:17]
	v_add_f64_e64 v[10:11], v[219:220], -v[217:218]
	v_add_f64_e32 v[24:25], v[24:25], v[142:143]
	v_add_f64_e32 v[32:33], v[32:33], v[142:143]
	;; [unrolled: 1-line block ×3, first 2 shown]
	v_add_f64_e64 v[22:23], v[22:23], -v[132:133]
	v_fma_f64 v[142:143], v[207:208], s[16:17], v[8:9]
	v_add_f64_e32 v[14:15], v[217:218], v[219:220]
	v_add_f64_e64 v[20:21], v[24:25], -v[36:37]
	v_add_f64_e32 v[24:25], v[36:37], v[24:25]
	v_fma_f64 v[36:37], v[136:137], s[22:23], v[211:212]
	s_delay_alu instid0(VALU_DEP_1) | instskip(SKIP_1) | instid1(VALU_DEP_2)
	v_fma_f64 v[34:35], v[26:27], s[14:15], v[36:37]
	v_add_f64_e32 v[36:37], v[28:29], v[215:216]
	v_add_f64_e64 v[28:29], v[32:33], -v[34:35]
	v_add_f64_e32 v[32:33], v[34:35], v[32:33]
	v_add_f64_e64 v[34:35], v[42:43], -v[120:121]
	v_add_f64_e64 v[42:43], v[128:129], -v[124:125]
	v_add_f64_e32 v[26:27], v[30:31], v[36:37]
	v_add_f64_e64 v[30:31], v[36:37], -v[30:31]
	v_add_f64_e64 v[36:37], v[44:45], -v[122:123]
	;; [unrolled: 1-line block ×10, first 2 shown]
	v_add_f64_e32 v[34:35], v[42:43], v[34:35]
	v_add_f64_e64 v[197:198], v[116:117], -v[42:43]
	v_add_f64_e64 v[122:123], v[36:37], -v[118:119]
	;; [unrolled: 1-line block ×3, first 2 shown]
	v_add_f64_e32 v[36:37], v[44:45], v[36:37]
	v_mul_f64_e32 v[42:43], s[8:9], v[120:121]
	v_mul_f64_e32 v[132:133], s[20:21], v[38:39]
	v_add_f64_e32 v[136:137], v[34:35], v[116:117]
	v_mul_f64_e32 v[34:35], s[2:3], v[124:125]
	v_mul_f64_e32 v[134:135], s[20:21], v[40:41]
	v_add_f64_e32 v[138:139], v[36:37], v[118:119]
	v_mul_f64_e32 v[36:37], s[2:3], v[128:129]
	v_fma_f64 v[42:43], v[197:198], s[28:29], -v[42:43]
	v_fma_f64 v[38:39], v[120:121], s[8:9], -v[132:133]
	v_mul_f64_e32 v[120:121], s[24:25], v[188:189]
	v_fma_f64 v[34:35], v[126:127], s[18:19], -v[34:35]
	v_fma_f64 v[36:37], v[130:131], s[18:19], -v[36:37]
	s_delay_alu instid0(VALU_DEP_4) | instskip(SKIP_1) | instid1(VALU_DEP_4)
	v_fma_f64 v[40:41], v[136:137], s[14:15], v[38:39]
	v_fma_f64 v[38:39], v[122:123], s[8:9], -v[134:135]
	v_add_f64_e32 v[190:191], v[34:35], v[140:141]
	v_fma_f64 v[116:117], v[126:127], s[26:27], -v[120:121]
	v_fma_f64 v[126:127], v[136:137], s[14:15], v[42:43]
	v_fma_f64 v[120:121], v[124:125], s[2:3], v[120:121]
	v_add_f64_e32 v[199:200], v[36:37], v[142:143]
	v_fma_f64 v[38:39], v[138:139], s[14:15], v[38:39]
	v_add_f64_e32 v[116:117], v[116:117], v[140:141]
	s_delay_alu instid0(VALU_DEP_3)
	v_add_f64_e32 v[36:37], v[40:41], v[199:200]
	v_add_f64_e64 v[40:41], v[199:200], -v[40:41]
	v_add_f64_e64 v[199:200], v[118:119], -v[44:45]
	v_mul_f64_e32 v[44:45], s[8:9], v[122:123]
	v_add_f64_e64 v[34:35], v[190:191], -v[38:39]
	v_add_f64_e32 v[38:39], v[38:39], v[190:191]
	v_add_f64_e64 v[190:191], v[201:202], -v[205:206]
	s_delay_alu instid0(VALU_DEP_4) | instskip(NEXT) | instid1(VALU_DEP_2)
	v_fma_f64 v[44:45], v[199:200], s[28:29], -v[44:45]
	v_mul_f64_e32 v[122:123], s[24:25], v[190:191]
	s_delay_alu instid0(VALU_DEP_1) | instskip(NEXT) | instid1(VALU_DEP_3)
	v_fma_f64 v[118:119], v[130:131], s[26:27], -v[122:123]
	v_fma_f64 v[130:131], v[138:139], s[14:15], v[44:45]
	v_fma_f64 v[122:123], v[128:129], s[2:3], v[122:123]
	v_add_f64_e32 v[128:129], v[120:121], v[140:141]
	s_add_nc_u64 s[2:3], s[12:13], 0x2220
	s_delay_alu instid0(VALU_DEP_4) | instskip(NEXT) | instid1(VALU_DEP_4)
	v_add_f64_e32 v[118:119], v[118:119], v[142:143]
	v_add_f64_e32 v[42:43], v[130:131], v[116:117]
	v_add_f64_e64 v[116:117], v[116:117], -v[130:131]
	v_fma_f64 v[130:131], v[199:200], s[22:23], v[134:135]
	s_delay_alu instid0(VALU_DEP_4) | instskip(SKIP_2) | instid1(VALU_DEP_4)
	v_add_f64_e64 v[44:45], v[118:119], -v[126:127]
	v_add_f64_e32 v[118:119], v[126:127], v[118:119]
	v_fma_f64 v[126:127], v[197:198], s[22:23], v[132:133]
	v_fma_f64 v[124:125], v[138:139], s[14:15], v[130:131]
	v_add_f64_e32 v[130:131], v[122:123], v[142:143]
	s_delay_alu instid0(VALU_DEP_3) | instskip(NEXT) | instid1(VALU_DEP_3)
	v_fma_f64 v[126:127], v[136:137], s[14:15], v[126:127]
	v_add_f64_e32 v[120:121], v[124:125], v[128:129]
	v_add_f64_e64 v[124:125], v[128:129], -v[124:125]
	s_delay_alu instid0(VALU_DEP_3)
	v_add_f64_e64 v[122:123], v[130:131], -v[126:127]
	v_add_f64_e32 v[126:127], v[126:127], v[130:131]
	ds_store_b128 v255, v[2:5]
	ds_store_b128 v255, v[26:29] offset:624
	ds_store_b128 v255, v[18:21] offset:1248
	;; [unrolled: 1-line block ×10, first 2 shown]
	v_mul_i32_i24_e32 v2, 0xffffffb0, v46
	v_mul_hi_i32_i24_e32 v3, 0xffffffb0, v46
	ds_store_b128 v255, v[38:41] offset:6864
	ds_store_b128 v255, v[116:119] offset:7488
	;; [unrolled: 1-line block ×3, first 2 shown]
	v_add_co_u32 v12, s1, v0, v2
	s_wait_alu 0xf1ff
	v_add_co_ci_u32_e64 v13, s1, v1, v3, s1
	global_wb scope:SCOPE_SE
	s_wait_dscnt 0x0
	s_barrier_signal -1
	s_barrier_wait -1
	global_inv scope:SCOPE_SE
	global_load_b128 v[116:119], v[12:13], off offset:4784
	ds_load_b128 v[0:3], v255 offset:4992
	ds_load_b128 v[4:7], v255 offset:5616
	s_clause 0x2
	global_load_b128 v[120:123], v[12:13], off offset:4160
	global_load_b128 v[128:131], v[12:13], off offset:5408
	;; [unrolled: 1-line block ×3, first 2 shown]
	v_lshl_add_u32 v46, v46, 4, v48
	s_wait_loadcnt_dscnt 0x301
	v_mul_f64_e32 v[8:9], v[2:3], v[118:119]
	s_delay_alu instid0(VALU_DEP_1) | instskip(SKIP_1) | instid1(VALU_DEP_1)
	v_fma_f64 v[14:15], v[0:1], v[116:117], -v[8:9]
	v_mul_f64_e32 v[0:1], v[0:1], v[118:119]
	v_fma_f64 v[16:17], v[2:3], v[116:117], v[0:1]
	s_wait_loadcnt_dscnt 0x100
	v_mul_f64_e32 v[0:1], v[6:7], v[130:131]
	s_delay_alu instid0(VALU_DEP_1) | instskip(SKIP_1) | instid1(VALU_DEP_1)
	v_fma_f64 v[24:25], v[4:5], v[128:129], -v[0:1]
	v_mul_f64_e32 v[0:1], v[4:5], v[130:131]
	v_fma_f64 v[26:27], v[6:7], v[128:129], v[0:1]
	ds_load_b128 v[0:3], v255 offset:6240
	ds_load_b128 v[4:7], v255 offset:6864
	s_clause 0x1
	global_load_b128 v[136:139], v[12:13], off offset:6656
	global_load_b128 v[132:135], v[12:13], off offset:7280
	s_wait_loadcnt_dscnt 0x201
	v_mul_f64_e32 v[8:9], v[2:3], v[126:127]
	s_delay_alu instid0(VALU_DEP_1) | instskip(SKIP_1) | instid1(VALU_DEP_1)
	v_fma_f64 v[28:29], v[0:1], v[124:125], -v[8:9]
	v_mul_f64_e32 v[0:1], v[0:1], v[126:127]
	v_fma_f64 v[30:31], v[2:3], v[124:125], v[0:1]
	s_wait_loadcnt_dscnt 0x100
	v_mul_f64_e32 v[0:1], v[6:7], v[138:139]
	s_delay_alu instid0(VALU_DEP_1) | instskip(SKIP_1) | instid1(VALU_DEP_1)
	v_fma_f64 v[40:41], v[4:5], v[136:137], -v[0:1]
	v_mul_f64_e32 v[0:1], v[4:5], v[138:139]
	v_fma_f64 v[42:43], v[6:7], v[136:137], v[0:1]
	ds_load_b128 v[0:3], v255 offset:7488
	ds_load_b128 v[4:7], v255 offset:8112
	s_wait_loadcnt_dscnt 0x1
	v_mul_f64_e32 v[8:9], v[2:3], v[134:135]
	s_delay_alu instid0(VALU_DEP_1) | instskip(SKIP_1) | instid1(VALU_DEP_1)
	v_fma_f64 v[44:45], v[0:1], v[132:133], -v[8:9]
	v_mul_f64_e32 v[0:1], v[0:1], v[134:135]
	v_fma_f64 v[188:189], v[2:3], v[132:133], v[0:1]
	ds_load_b128 v[0:3], v255 offset:4368
	ds_load_b128 v[8:11], v255 offset:3744
	global_load_b128 v[140:143], v[12:13], off offset:7904
	s_wait_dscnt 0x1
	v_mul_f64_e32 v[18:19], v[2:3], v[122:123]
	s_delay_alu instid0(VALU_DEP_1) | instskip(SKIP_1) | instid1(VALU_DEP_1)
	v_fma_f64 v[190:191], v[0:1], v[120:121], -v[18:19]
	v_mul_f64_e32 v[0:1], v[0:1], v[122:123]
	v_fma_f64 v[203:204], v[2:3], v[120:121], v[0:1]
	s_wait_loadcnt 0x0
	v_mul_f64_e32 v[0:1], v[6:7], v[142:143]
	s_delay_alu instid0(VALU_DEP_1) | instskip(SKIP_1) | instid1(VALU_DEP_1)
	v_fma_f64 v[205:206], v[4:5], v[140:141], -v[0:1]
	v_mul_f64_e32 v[0:1], v[4:5], v[142:143]
	v_fma_f64 v[207:208], v[6:7], v[140:141], v[0:1]
	ds_load_b128 v[0:3], v255 offset:624
	ds_load_b128 v[4:7], v255
	s_wait_dscnt 0x1
	v_add_f64_e64 v[12:13], v[0:1], -v[14:15]
	v_add_f64_e64 v[14:15], v[2:3], -v[16:17]
	ds_load_b128 v[16:19], v255 offset:1248
	ds_load_b128 v[20:23], v255 offset:1872
	;; [unrolled: 1-line block ×4, first 2 shown]
	s_wait_dscnt 0x4
	v_add_f64_e64 v[201:202], v[4:5], -v[190:191]
	v_add_f64_e64 v[203:204], v[6:7], -v[203:204]
	scratch_store_b32 off, v48, off offset:4 ; 4-byte Folded Spill
	v_add_f64_e64 v[190:191], v[10:11], -v[207:208]
	s_wait_dscnt 0x3
	v_add_f64_e64 v[24:25], v[16:17], -v[24:25]
	v_add_f64_e64 v[26:27], v[18:19], -v[26:27]
	s_wait_dscnt 0x2
	v_add_f64_e64 v[28:29], v[20:21], -v[28:29]
	;; [unrolled: 3-line block ×4, first 2 shown]
	v_add_f64_e64 v[199:200], v[38:39], -v[188:189]
	v_add_f64_e64 v[188:189], v[8:9], -v[205:206]
	v_fma_f64 v[0:1], v[0:1], 2.0, -v[12:13]
	v_fma_f64 v[2:3], v[2:3], 2.0, -v[14:15]
	;; [unrolled: 1-line block ×14, first 2 shown]
	ds_store_b128 v46, v[12:15] offset:4992
	ds_store_b128 v46, v[24:27] offset:5616
	;; [unrolled: 1-line block ×10, first 2 shown]
	ds_store_b128 v255, v[4:7]
	ds_store_b128 v255, v[197:200] offset:7488
	ds_store_b128 v46, v[8:11] offset:3744
	;; [unrolled: 1-line block ×3, first 2 shown]
	global_wb scope:SCOPE_SE
	s_wait_storecnt_dscnt 0x0
	s_barrier_signal -1
	s_barrier_wait -1
	global_inv scope:SCOPE_SE
	global_load_b128 v[0:3], v[248:249], off offset:8736
	ds_load_b128 v[4:7], v255
	ds_load_b128 v[8:11], v255 offset:672
	s_wait_loadcnt_dscnt 0x1
	v_mul_f64_e32 v[12:13], v[6:7], v[2:3]
	v_mul_f64_e32 v[14:15], v[4:5], v[2:3]
	s_delay_alu instid0(VALU_DEP_2) | instskip(NEXT) | instid1(VALU_DEP_2)
	v_fma_f64 v[2:3], v[4:5], v[0:1], -v[12:13]
	v_fma_f64 v[4:5], v[6:7], v[0:1], v[14:15]
	s_clause 0x1
	global_load_b128 v[12:15], v196, s[2:3] offset:672
	global_load_b128 v[16:19], v196, s[2:3] offset:1344
	s_wait_loadcnt_dscnt 0x100
	v_mul_f64_e32 v[0:1], v[10:11], v[14:15]
	v_mul_f64_e32 v[14:15], v[8:9], v[14:15]
	s_delay_alu instid0(VALU_DEP_2) | instskip(NEXT) | instid1(VALU_DEP_2)
	v_fma_f64 v[6:7], v[8:9], v[12:13], -v[0:1]
	v_fma_f64 v[8:9], v[10:11], v[12:13], v[14:15]
	ds_load_b128 v[10:13], v255 offset:1344
	ds_load_b128 v[20:23], v255 offset:2016
	s_wait_loadcnt_dscnt 0x1
	v_mul_f64_e32 v[0:1], v[12:13], v[18:19]
	v_mul_f64_e32 v[14:15], v[10:11], v[18:19]
	s_delay_alu instid0(VALU_DEP_2) | instskip(NEXT) | instid1(VALU_DEP_2)
	v_fma_f64 v[10:11], v[10:11], v[16:17], -v[0:1]
	v_fma_f64 v[12:13], v[12:13], v[16:17], v[14:15]
	s_clause 0x1
	global_load_b128 v[14:17], v196, s[2:3] offset:2016
	global_load_b128 v[24:27], v196, s[2:3] offset:2688
	s_wait_loadcnt_dscnt 0x100
	v_mul_f64_e32 v[0:1], v[22:23], v[16:17]
	v_mul_f64_e32 v[18:19], v[20:21], v[16:17]
	s_delay_alu instid0(VALU_DEP_2) | instskip(NEXT) | instid1(VALU_DEP_2)
	v_fma_f64 v[16:17], v[20:21], v[14:15], -v[0:1]
	v_fma_f64 v[18:19], v[22:23], v[14:15], v[18:19]
	ds_load_b128 v[20:23], v255 offset:2688
	ds_load_b128 v[28:31], v255 offset:3360
	s_wait_loadcnt_dscnt 0x1
	v_mul_f64_e32 v[0:1], v[22:23], v[26:27]
	v_mul_f64_e32 v[14:15], v[20:21], v[26:27]
	s_delay_alu instid0(VALU_DEP_2) | instskip(NEXT) | instid1(VALU_DEP_2)
	v_fma_f64 v[20:21], v[20:21], v[24:25], -v[0:1]
	v_fma_f64 v[22:23], v[22:23], v[24:25], v[14:15]
	s_clause 0x1
	global_load_b128 v[24:27], v196, s[2:3] offset:3360
	global_load_b128 v[32:35], v196, s[2:3] offset:4032
	ds_load_b128 v[36:39], v255 offset:4032
	ds_load_b128 v[40:43], v255 offset:4704
	s_wait_loadcnt_dscnt 0x102
	v_mul_f64_e32 v[0:1], v[30:31], v[26:27]
	v_mul_f64_e32 v[14:15], v[28:29], v[26:27]
	s_delay_alu instid0(VALU_DEP_2) | instskip(SKIP_2) | instid1(VALU_DEP_3)
	v_fma_f64 v[26:27], v[28:29], v[24:25], -v[0:1]
	s_wait_loadcnt_dscnt 0x1
	v_mul_f64_e32 v[0:1], v[38:39], v[34:35]
	v_fma_f64 v[28:29], v[30:31], v[24:25], v[14:15]
	v_mul_f64_e32 v[14:15], v[36:37], v[34:35]
	s_delay_alu instid0(VALU_DEP_3)
	v_fma_f64 v[30:31], v[36:37], v[32:33], -v[0:1]
	s_clause 0x1
	global_load_b128 v[34:37], v196, s[2:3] offset:4704
	global_load_b128 v[197:200], v196, s[2:3] offset:5376
	v_fma_f64 v[32:33], v[38:39], v[32:33], v[14:15]
	s_wait_loadcnt_dscnt 0x100
	v_mul_f64_e32 v[0:1], v[42:43], v[36:37]
	v_mul_f64_e32 v[14:15], v[40:41], v[36:37]
	s_delay_alu instid0(VALU_DEP_2) | instskip(NEXT) | instid1(VALU_DEP_2)
	v_fma_f64 v[36:37], v[40:41], v[34:35], -v[0:1]
	v_fma_f64 v[38:39], v[42:43], v[34:35], v[14:15]
	ds_load_b128 v[40:43], v255 offset:5376
	ds_load_b128 v[201:204], v255 offset:6048
	s_wait_loadcnt_dscnt 0x1
	v_mul_f64_e32 v[0:1], v[42:43], v[199:200]
	v_mul_f64_e32 v[14:15], v[40:41], v[199:200]
	s_delay_alu instid0(VALU_DEP_2) | instskip(NEXT) | instid1(VALU_DEP_2)
	v_fma_f64 v[40:41], v[40:41], v[197:198], -v[0:1]
	v_fma_f64 v[42:43], v[42:43], v[197:198], v[14:15]
	s_clause 0x1
	global_load_b128 v[197:200], v196, s[2:3] offset:6048
	global_load_b128 v[205:208], v196, s[2:3] offset:6720
	ds_load_b128 v[209:212], v255 offset:6720
	ds_load_b128 v[213:216], v255 offset:7392
	s_wait_loadcnt_dscnt 0x102
	v_mul_f64_e32 v[0:1], v[203:204], v[199:200]
	v_mul_f64_e32 v[14:15], v[201:202], v[199:200]
	s_delay_alu instid0(VALU_DEP_2) | instskip(SKIP_2) | instid1(VALU_DEP_3)
	v_fma_f64 v[199:200], v[201:202], v[197:198], -v[0:1]
	s_wait_loadcnt_dscnt 0x1
	v_mul_f64_e32 v[0:1], v[211:212], v[207:208]
	v_fma_f64 v[201:202], v[203:204], v[197:198], v[14:15]
	v_mul_f64_e32 v[14:15], v[209:210], v[207:208]
	s_delay_alu instid0(VALU_DEP_3)
	v_fma_f64 v[203:204], v[209:210], v[205:206], -v[0:1]
	s_clause 0x1
	global_load_b128 v[207:210], v196, s[2:3] offset:7392
	global_load_b128 v[217:220], v196, s[2:3] offset:8064
	v_fma_f64 v[205:206], v[211:212], v[205:206], v[14:15]
	s_wait_loadcnt_dscnt 0x100
	v_mul_f64_e32 v[0:1], v[215:216], v[209:210]
	v_mul_f64_e32 v[14:15], v[213:214], v[209:210]
	s_delay_alu instid0(VALU_DEP_2) | instskip(NEXT) | instid1(VALU_DEP_2)
	v_fma_f64 v[209:210], v[213:214], v[207:208], -v[0:1]
	v_fma_f64 v[211:212], v[215:216], v[207:208], v[14:15]
	ds_load_b128 v[213:216], v255 offset:8064
	s_wait_loadcnt_dscnt 0x0
	v_mul_f64_e32 v[0:1], v[215:216], v[219:220]
	v_mul_f64_e32 v[14:15], v[213:214], v[219:220]
	s_delay_alu instid0(VALU_DEP_2) | instskip(NEXT) | instid1(VALU_DEP_2)
	v_fma_f64 v[213:214], v[213:214], v[217:218], -v[0:1]
	v_fma_f64 v[215:216], v[215:216], v[217:218], v[14:15]
	ds_store_b128 v255, v[2:5]
	ds_store_b128 v255, v[6:9] offset:672
	ds_store_b128 v255, v[10:13] offset:1344
	;; [unrolled: 1-line block ×12, first 2 shown]
	s_and_saveexec_b32 s1, vcc_lo
	s_cbranch_execz .LBB0_13
; %bb.12:
	s_wait_alu 0xfffe
	v_add_co_u32 v0, s2, s2, v196
	s_wait_alu 0xf1ff
	v_add_co_ci_u32_e64 v1, null, s3, 0, s2
	s_clause 0x5
	global_load_b128 v[2:5], v[0:1], off offset:624
	global_load_b128 v[6:9], v[0:1], off offset:1296
	;; [unrolled: 1-line block ×6, first 2 shown]
	ds_load_b128 v[26:29], v46 offset:624
	s_wait_loadcnt_dscnt 0x500
	v_mul_f64_e32 v[30:31], v[28:29], v[4:5]
	v_mul_f64_e32 v[4:5], v[26:27], v[4:5]
	s_delay_alu instid0(VALU_DEP_2) | instskip(NEXT) | instid1(VALU_DEP_2)
	v_fma_f64 v[26:27], v[26:27], v[2:3], -v[30:31]
	v_fma_f64 v[28:29], v[28:29], v[2:3], v[4:5]
	ds_store_b128 v46, v[26:29] offset:624
	ds_load_b128 v[2:5], v255 offset:1296
	ds_load_b128 v[26:29], v255 offset:1968
	s_wait_loadcnt_dscnt 0x401
	v_mul_f64_e32 v[30:31], v[4:5], v[8:9]
	v_mul_f64_e32 v[8:9], v[2:3], v[8:9]
	s_wait_loadcnt_dscnt 0x300
	v_mul_f64_e32 v[34:35], v[28:29], v[12:13]
	v_mul_f64_e32 v[12:13], v[26:27], v[12:13]
	s_delay_alu instid0(VALU_DEP_4) | instskip(NEXT) | instid1(VALU_DEP_4)
	v_fma_f64 v[2:3], v[2:3], v[6:7], -v[30:31]
	v_fma_f64 v[4:5], v[4:5], v[6:7], v[8:9]
	ds_load_b128 v[6:9], v255 offset:2640
	ds_load_b128 v[30:33], v255 offset:3312
	v_fma_f64 v[26:27], v[26:27], v[10:11], -v[34:35]
	v_fma_f64 v[28:29], v[28:29], v[10:11], v[12:13]
	s_wait_loadcnt_dscnt 0x201
	v_mul_f64_e32 v[36:37], v[8:9], v[16:17]
	v_mul_f64_e32 v[10:11], v[6:7], v[16:17]
	s_wait_loadcnt_dscnt 0x100
	v_mul_f64_e32 v[34:35], v[32:33], v[20:21]
	v_mul_f64_e32 v[20:21], v[30:31], v[20:21]
	s_delay_alu instid0(VALU_DEP_4) | instskip(NEXT) | instid1(VALU_DEP_4)
	v_fma_f64 v[6:7], v[6:7], v[14:15], -v[36:37]
	v_fma_f64 v[8:9], v[8:9], v[14:15], v[10:11]
	ds_load_b128 v[14:17], v255 offset:3984
	global_load_b128 v[10:13], v[0:1], off offset:4656
	v_fma_f64 v[30:31], v[30:31], v[18:19], -v[34:35]
	v_fma_f64 v[32:33], v[32:33], v[18:19], v[20:21]
	ds_load_b128 v[18:21], v255 offset:4656
	s_wait_loadcnt_dscnt 0x101
	v_mul_f64_e32 v[34:35], v[16:17], v[24:25]
	v_mul_f64_e32 v[24:25], v[14:15], v[24:25]
	s_delay_alu instid0(VALU_DEP_2) | instskip(NEXT) | instid1(VALU_DEP_2)
	v_fma_f64 v[14:15], v[14:15], v[22:23], -v[34:35]
	v_fma_f64 v[16:17], v[16:17], v[22:23], v[24:25]
	global_load_b128 v[22:25], v[0:1], off offset:5328
	s_wait_loadcnt_dscnt 0x100
	v_mul_f64_e32 v[34:35], v[20:21], v[12:13]
	v_mul_f64_e32 v[12:13], v[18:19], v[12:13]
	s_delay_alu instid0(VALU_DEP_2) | instskip(NEXT) | instid1(VALU_DEP_2)
	v_fma_f64 v[18:19], v[18:19], v[10:11], -v[34:35]
	v_fma_f64 v[20:21], v[20:21], v[10:11], v[12:13]
	ds_load_b128 v[10:13], v255 offset:5328
	ds_load_b128 v[34:37], v255 offset:6000
	s_wait_loadcnt_dscnt 0x1
	v_mul_f64_e32 v[38:39], v[12:13], v[24:25]
	v_mul_f64_e32 v[24:25], v[10:11], v[24:25]
	s_delay_alu instid0(VALU_DEP_2) | instskip(NEXT) | instid1(VALU_DEP_2)
	v_fma_f64 v[10:11], v[10:11], v[22:23], -v[38:39]
	v_fma_f64 v[12:13], v[12:13], v[22:23], v[24:25]
	s_clause 0x1
	global_load_b128 v[22:25], v[0:1], off offset:6000
	global_load_b128 v[38:41], v[0:1], off offset:6672
	s_wait_loadcnt_dscnt 0x100
	v_mul_f64_e32 v[42:43], v[36:37], v[24:25]
	v_mul_f64_e32 v[24:25], v[34:35], v[24:25]
	s_delay_alu instid0(VALU_DEP_2) | instskip(NEXT) | instid1(VALU_DEP_2)
	v_fma_f64 v[34:35], v[34:35], v[22:23], -v[42:43]
	v_fma_f64 v[36:37], v[36:37], v[22:23], v[24:25]
	ds_load_b128 v[22:25], v255 offset:6672
	ds_load_b128 v[42:45], v255 offset:7344
	s_wait_loadcnt_dscnt 0x1
	v_mul_f64_e32 v[196:197], v[24:25], v[40:41]
	v_mul_f64_e32 v[40:41], v[22:23], v[40:41]
	s_delay_alu instid0(VALU_DEP_2) | instskip(NEXT) | instid1(VALU_DEP_2)
	v_fma_f64 v[22:23], v[22:23], v[38:39], -v[196:197]
	v_fma_f64 v[24:25], v[24:25], v[38:39], v[40:41]
	s_clause 0x1
	global_load_b128 v[38:41], v[0:1], off offset:7344
	global_load_b128 v[196:199], v[0:1], off offset:8016
	s_wait_loadcnt_dscnt 0x100
	v_mul_f64_e32 v[200:201], v[44:45], v[40:41]
	v_mul_f64_e32 v[202:203], v[42:43], v[40:41]
	s_delay_alu instid0(VALU_DEP_2) | instskip(NEXT) | instid1(VALU_DEP_2)
	v_fma_f64 v[40:41], v[42:43], v[38:39], -v[200:201]
	v_fma_f64 v[42:43], v[44:45], v[38:39], v[202:203]
	ds_load_b128 v[200:203], v255 offset:8016
	ds_load_b128 v[204:207], v255 offset:8688
	global_load_b128 v[208:211], v[0:1], off offset:8688
	s_wait_loadcnt_dscnt 0x101
	v_mul_f64_e32 v[38:39], v[202:203], v[198:199]
	v_mul_f64_e32 v[44:45], v[200:201], v[198:199]
	s_delay_alu instid0(VALU_DEP_2) | instskip(NEXT) | instid1(VALU_DEP_2)
	v_fma_f64 v[198:199], v[200:201], v[196:197], -v[38:39]
	v_fma_f64 v[200:201], v[202:203], v[196:197], v[44:45]
	s_wait_loadcnt_dscnt 0x0
	v_mul_f64_e32 v[0:1], v[206:207], v[210:211]
	v_mul_f64_e32 v[38:39], v[204:205], v[210:211]
	s_delay_alu instid0(VALU_DEP_2) | instskip(NEXT) | instid1(VALU_DEP_2)
	v_fma_f64 v[202:203], v[204:205], v[208:209], -v[0:1]
	v_fma_f64 v[204:205], v[206:207], v[208:209], v[38:39]
	ds_store_b128 v255, v[2:5] offset:1296
	ds_store_b128 v255, v[26:29] offset:1968
	;; [unrolled: 1-line block ×12, first 2 shown]
.LBB0_13:
	s_wait_alu 0xfffe
	s_or_b32 exec_lo, exec_lo, s1
	global_wb scope:SCOPE_SE
	s_wait_dscnt 0x0
	s_barrier_signal -1
	s_barrier_wait -1
	global_inv scope:SCOPE_SE
	ds_load_b128 v[196:199], v255
	ds_load_b128 v[200:203], v255 offset:672
	ds_load_b128 v[204:207], v255 offset:1344
	ds_load_b128 v[212:215], v255 offset:2016
	ds_load_b128 v[224:227], v255 offset:2688
	ds_load_b128 v[232:235], v255 offset:3360
	ds_load_b128 v[244:247], v255 offset:4032
	ds_load_b128 v[240:243], v255 offset:4704
	ds_load_b128 v[236:239], v255 offset:5376
	ds_load_b128 v[228:231], v255 offset:6048
	ds_load_b128 v[220:223], v255 offset:6720
	ds_load_b128 v[216:219], v255 offset:7392
	ds_load_b128 v[208:211], v255 offset:8064
	s_and_saveexec_b32 s1, vcc_lo
	s_cbranch_execz .LBB0_15
; %bb.14:
	ds_load_b128 v[188:191], v46 offset:624
	ds_load_b128 v[192:195], v46 offset:1296
	;; [unrolled: 1-line block ×13, first 2 shown]
.LBB0_15:
	s_wait_alu 0xfffe
	s_or_b32 exec_lo, exec_lo, s1
	s_wait_dscnt 0xb
	v_add_f64_e32 v[0:1], v[196:197], v[200:201]
	v_add_f64_e32 v[2:3], v[198:199], v[202:203]
	s_wait_dscnt 0x1
	v_add_f64_e32 v[34:35], v[206:207], v[218:219]
	v_add_f64_e64 v[36:37], v[206:207], -v[218:219]
	s_wait_dscnt 0x0
	v_add_f64_e32 v[42:43], v[200:201], v[208:209]
	v_add_f64_e64 v[44:45], v[202:203], -v[210:211]
	v_add_f64_e32 v[26:27], v[226:227], v[230:231]
	v_add_f64_e64 v[28:29], v[226:227], -v[230:231]
	;; [unrolled: 2-line block ×5, first 2 shown]
	s_mov_b32 s44, 0x4267c47c
	s_mov_b32 s22, 0x42a4c3d2
	;; [unrolled: 1-line block ×12, first 2 shown]
	v_add_f64_e64 v[251:252], v[192:193], -v[152:153]
	s_mov_b32 s18, 0xe00740e9
	s_mov_b32 s16, 0x1ea71119
	;; [unrolled: 1-line block ×11, first 2 shown]
	v_add_f64_e32 v[0:1], v[0:1], v[204:205]
	v_add_f64_e32 v[2:3], v[2:3], v[206:207]
	s_mov_b32 s3, 0xbfef11f4
	s_wait_alu 0xfffe
	s_mov_b32 s42, s20
	s_mov_b32 s27, 0x3fddbe06
	;; [unrolled: 1-line block ×10, first 2 shown]
	global_wb scope:SCOPE_SE
	s_barrier_signal -1
	s_barrier_wait -1
	global_inv scope:SCOPE_SE
	v_add_f64_e32 v[0:1], v[0:1], v[212:213]
	v_add_f64_e32 v[2:3], v[2:3], v[214:215]
	;; [unrolled: 1-line block ×3, first 2 shown]
	s_delay_alu instid0(VALU_DEP_3) | instskip(NEXT) | instid1(VALU_DEP_3)
	v_add_f64_e32 v[0:1], v[0:1], v[224:225]
	v_add_f64_e32 v[2:3], v[2:3], v[226:227]
	;; [unrolled: 1-line block ×3, first 2 shown]
	s_delay_alu instid0(VALU_DEP_3) | instskip(NEXT) | instid1(VALU_DEP_3)
	v_add_f64_e32 v[0:1], v[0:1], v[232:233]
	v_add_f64_e32 v[2:3], v[2:3], v[234:235]
	v_add_f64_e64 v[234:235], v[168:169], -v[176:177]
	s_delay_alu instid0(VALU_DEP_3) | instskip(NEXT) | instid1(VALU_DEP_3)
	v_add_f64_e32 v[4:5], v[0:1], v[244:245]
	v_add_f64_e32 v[6:7], v[2:3], v[246:247]
	;; [unrolled: 1-line block ×3, first 2 shown]
	v_add_f64_e64 v[2:3], v[244:245], -v[240:241]
	v_add_f64_e64 v[246:247], v[144:145], -v[156:157]
	;; [unrolled: 1-line block ×3, first 2 shown]
	v_add_f64_e32 v[8:9], v[4:5], v[240:241]
	v_add_f64_e32 v[10:11], v[6:7], v[242:243]
	;; [unrolled: 1-line block ×3, first 2 shown]
	v_add_f64_e64 v[6:7], v[232:233], -v[236:237]
	v_add_f64_e64 v[232:233], v[170:171], -v[178:179]
	;; [unrolled: 1-line block ×4, first 2 shown]
	v_add_f64_e32 v[14:15], v[8:9], v[236:237]
	v_add_f64_e32 v[16:17], v[10:11], v[238:239]
	v_add_f64_e32 v[8:9], v[224:225], v[228:229]
	v_add_f64_e64 v[10:11], v[224:225], -v[228:229]
	v_add_f64_e64 v[238:239], v[160:161], -v[172:173]
	;; [unrolled: 1-line block ×3, first 2 shown]
	v_add_f64_e32 v[224:225], v[192:193], v[152:153]
	v_add_f64_e32 v[22:23], v[14:15], v[228:229]
	;; [unrolled: 1-line block ×3, first 2 shown]
	v_add_f64_e64 v[228:229], v[180:181], -v[184:185]
	v_add_f64_e64 v[230:231], v[182:183], -v[186:187]
	v_add_f64_e32 v[14:15], v[212:213], v[220:221]
	v_add_f64_e64 v[16:17], v[212:213], -v[220:221]
	v_add_f64_e32 v[212:213], v[170:171], v[178:179]
	v_add_f64_e32 v[38:39], v[22:23], v[220:221]
	;; [unrolled: 1-line block ×4, first 2 shown]
	v_add_f64_e64 v[24:25], v[204:205], -v[216:217]
	v_add_f64_e32 v[220:221], v[150:151], v[166:167]
	v_add_f64_e32 v[222:223], v[146:147], v[158:159]
	;; [unrolled: 1-line block ×5, first 2 shown]
	v_add_f64_e64 v[38:39], v[200:201], -v[208:209]
	v_add_f64_e32 v[216:217], v[162:163], v[174:175]
	v_add_f64_e32 v[218:219], v[144:145], v[156:157]
	;; [unrolled: 1-line block ×7, first 2 shown]
	v_add_f64_e64 v[192:193], v[194:195], -v[154:155]
	s_delay_alu instid0(VALU_DEP_4) | instskip(NEXT) | instid1(VALU_DEP_4)
	v_add_f64_e32 v[204:205], v[204:205], v[144:145]
	v_add_f64_e32 v[206:207], v[206:207], v[146:147]
	s_delay_alu instid0(VALU_DEP_2) | instskip(NEXT) | instid1(VALU_DEP_2)
	v_add_f64_e32 v[204:205], v[204:205], v[148:149]
	v_add_f64_e32 v[206:207], v[206:207], v[150:151]
	s_delay_alu instid0(VALU_DEP_2) | instskip(NEXT) | instid1(VALU_DEP_2)
	;; [unrolled: 3-line block ×4, first 2 shown]
	v_add_f64_e32 v[208:209], v[204:205], v[180:181]
	v_add_f64_e32 v[206:207], v[206:207], v[182:183]
	v_add_f64_e32 v[204:205], v[180:181], v[184:185]
	s_delay_alu instid0(VALU_DEP_3) | instskip(NEXT) | instid1(VALU_DEP_3)
	v_add_f64_e32 v[180:181], v[208:209], v[184:185]
	v_add_f64_e32 v[182:183], v[206:207], v[186:187]
	;; [unrolled: 1-line block ×4, first 2 shown]
	s_delay_alu instid0(VALU_DEP_4) | instskip(NEXT) | instid1(VALU_DEP_4)
	v_add_f64_e32 v[168:169], v[180:181], v[176:177]
	v_add_f64_e32 v[170:171], v[182:183], v[178:179]
	v_mul_f64_e32 v[176:177], s[8:9], v[40:41]
	s_delay_alu instid0(VALU_DEP_3) | instskip(NEXT) | instid1(VALU_DEP_3)
	v_add_f64_e32 v[160:161], v[168:169], v[172:173]
	v_add_f64_e32 v[162:163], v[170:171], v[174:175]
	v_mul_f64_e32 v[170:171], s[16:17], v[40:41]
	v_mul_f64_e32 v[172:173], s[14:15], v[40:41]
	;; [unrolled: 1-line block ×3, first 2 shown]
	s_wait_alu 0xfffe
	v_fma_f64 v[186:187], v[38:39], s[30:31], v[176:177]
	v_fma_f64 v[176:177], v[38:39], s[34:35], v[176:177]
	v_add_f64_e32 v[148:149], v[160:161], v[164:165]
	v_add_f64_e32 v[150:151], v[162:163], v[166:167]
	v_fma_f64 v[180:181], v[38:39], s[40:41], v[170:171]
	v_fma_f64 v[170:171], v[38:39], s[22:23], v[170:171]
	;; [unrolled: 1-line block ×6, first 2 shown]
	v_add_f64_e32 v[54:55], v[198:199], v[176:177]
	v_add_f64_e32 v[186:187], v[198:199], v[186:187]
	;; [unrolled: 1-line block ×4, first 2 shown]
	v_mul_f64_e32 v[148:149], s[44:45], v[44:45]
	v_mul_f64_e32 v[150:151], s[22:23], v[44:45]
	;; [unrolled: 1-line block ×3, first 2 shown]
	v_add_f64_e32 v[170:171], v[198:199], v[170:171]
	v_add_f64_e32 v[50:51], v[198:199], v[184:185]
	;; [unrolled: 1-line block ×7, first 2 shown]
	v_mul_f64_e32 v[152:153], s[36:37], v[44:45]
	v_mul_f64_e32 v[154:155], s[24:25], v[44:45]
	;; [unrolled: 1-line block ×3, first 2 shown]
	v_fma_f64 v[158:159], v[42:43], s[18:19], v[148:149]
	v_fma_f64 v[148:149], v[42:43], s[18:19], -v[148:149]
	v_fma_f64 v[160:161], v[42:43], s[16:17], v[150:151]
	v_fma_f64 v[150:151], v[42:43], s[16:17], -v[150:151]
	;; [unrolled: 2-line block ×6, first 2 shown]
	v_mul_f64_e32 v[44:45], s[18:19], v[40:41]
	v_mul_f64_e32 v[40:41], s[2:3], v[40:41]
	v_add_f64_e32 v[148:149], v[196:197], v[148:149]
	v_add_f64_e32 v[160:161], v[196:197], v[160:161]
	;; [unrolled: 1-line block ×4, first 2 shown]
	v_mul_f64_e32 v[156:157], s[36:37], v[32:33]
	v_add_f64_e32 v[162:163], v[196:197], v[162:163]
	v_add_f64_e32 v[152:153], v[196:197], v[152:153]
	;; [unrolled: 1-line block ×5, first 2 shown]
	v_fma_f64 v[178:179], v[38:39], s[26:27], v[44:45]
	v_fma_f64 v[194:195], v[38:39], s[42:43], v[40:41]
	;; [unrolled: 1-line block ×4, first 2 shown]
	v_add_f64_e32 v[40:41], v[196:197], v[158:159]
	v_add_f64_e32 v[158:159], v[198:199], v[178:179]
	;; [unrolled: 1-line block ×4, first 2 shown]
	v_mul_f64_e32 v[42:43], s[22:23], v[36:37]
	v_add_f64_e32 v[178:179], v[198:199], v[180:181]
	v_add_f64_e32 v[180:181], v[196:197], v[150:151]
	;; [unrolled: 1-line block ×3, first 2 shown]
	v_mul_f64_e32 v[150:151], s[16:17], v[34:35]
	v_add_f64_e32 v[44:45], v[198:199], v[44:45]
	v_fma_f64 v[38:39], v[22:23], s[16:17], v[42:43]
	v_fma_f64 v[42:43], v[22:23], s[16:17], -v[42:43]
	s_delay_alu instid0(VALU_DEP_2) | instskip(SKIP_1) | instid1(VALU_DEP_3)
	v_add_f64_e32 v[38:39], v[38:39], v[40:41]
	v_fma_f64 v[40:41], v[24:25], s[40:41], v[150:151]
	v_add_f64_e32 v[42:43], v[42:43], v[148:149]
	s_delay_alu instid0(VALU_DEP_2) | instskip(SKIP_1) | instid1(VALU_DEP_1)
	v_add_f64_e32 v[40:41], v[40:41], v[158:159]
	v_fma_f64 v[158:159], v[14:15], s[14:15], v[156:157]
	v_add_f64_e32 v[38:39], v[158:159], v[38:39]
	v_mul_f64_e32 v[158:159], s[14:15], v[30:31]
	s_delay_alu instid0(VALU_DEP_1) | instskip(NEXT) | instid1(VALU_DEP_1)
	v_fma_f64 v[164:165], v[16:17], s[28:29], v[158:159]
	v_add_f64_e32 v[40:41], v[164:165], v[40:41]
	v_mul_f64_e32 v[164:165], s[24:25], v[28:29]
	s_delay_alu instid0(VALU_DEP_1) | instskip(NEXT) | instid1(VALU_DEP_1)
	;; [unrolled: 4-line block ×6, first 2 shown]
	v_fma_f64 v[60:61], v[0:1], s[2:3], v[198:199]
	v_add_f64_e32 v[38:39], v[60:61], v[38:39]
	v_mul_f64_e32 v[60:61], s[2:3], v[253:254]
	s_delay_alu instid0(VALU_DEP_1) | instskip(SKIP_1) | instid1(VALU_DEP_2)
	v_fma_f64 v[62:63], v[2:3], s[42:43], v[60:61]
	v_fma_f64 v[60:61], v[2:3], s[20:21], v[60:61]
	v_add_f64_e32 v[40:41], v[62:63], v[40:41]
	v_fma_f64 v[62:63], v[24:25], s[22:23], v[150:151]
	s_delay_alu instid0(VALU_DEP_1) | instskip(SKIP_2) | instid1(VALU_DEP_2)
	v_add_f64_e32 v[44:45], v[62:63], v[44:45]
	v_fma_f64 v[62:63], v[14:15], s[14:15], -v[156:157]
	v_mul_f64_e32 v[156:157], s[20:21], v[32:33]
	v_add_f64_e32 v[42:43], v[62:63], v[42:43]
	v_fma_f64 v[62:63], v[16:17], s[36:37], v[158:159]
	s_delay_alu instid0(VALU_DEP_3) | instskip(SKIP_1) | instid1(VALU_DEP_3)
	v_fma_f64 v[158:159], v[14:15], s[2:3], v[156:157]
	v_fma_f64 v[156:157], v[14:15], s[2:3], -v[156:157]
	v_add_f64_e32 v[44:45], v[62:63], v[44:45]
	v_fma_f64 v[62:63], v[8:9], s[12:13], -v[164:165]
	s_delay_alu instid0(VALU_DEP_1) | instskip(SKIP_1) | instid1(VALU_DEP_1)
	v_add_f64_e32 v[42:43], v[62:63], v[42:43]
	v_fma_f64 v[62:63], v[10:11], s[24:25], v[166:167]
	v_add_f64_e32 v[44:45], v[62:63], v[44:45]
	v_fma_f64 v[62:63], v[4:5], s[8:9], -v[168:169]
	s_delay_alu instid0(VALU_DEP_1) | instskip(SKIP_1) | instid1(VALU_DEP_1)
	v_add_f64_e32 v[42:43], v[62:63], v[42:43]
	v_fma_f64 v[62:63], v[6:7], s[34:35], v[176:177]
	v_add_f64_e32 v[44:45], v[62:63], v[44:45]
	v_fma_f64 v[62:63], v[0:1], s[2:3], -v[198:199]
	s_delay_alu instid0(VALU_DEP_2) | instskip(SKIP_1) | instid1(VALU_DEP_3)
	v_add_f64_e32 v[150:151], v[60:61], v[44:45]
	v_mul_f64_e32 v[60:61], s[24:25], v[36:37]
	v_add_f64_e32 v[148:149], v[62:63], v[42:43]
	v_mul_f64_e32 v[62:63], s[12:13], v[34:35]
	s_delay_alu instid0(VALU_DEP_3) | instskip(SKIP_1) | instid1(VALU_DEP_3)
	v_fma_f64 v[42:43], v[22:23], s[12:13], v[60:61]
	v_fma_f64 v[60:61], v[22:23], s[12:13], -v[60:61]
	v_fma_f64 v[44:45], v[24:25], s[38:39], v[62:63]
	v_fma_f64 v[62:63], v[24:25], s[24:25], v[62:63]
	s_delay_alu instid0(VALU_DEP_4) | instskip(NEXT) | instid1(VALU_DEP_4)
	v_add_f64_e32 v[42:43], v[42:43], v[160:161]
	v_add_f64_e32 v[60:61], v[60:61], v[180:181]
	s_delay_alu instid0(VALU_DEP_4) | instskip(NEXT) | instid1(VALU_DEP_4)
	v_add_f64_e32 v[44:45], v[44:45], v[178:179]
	v_add_f64_e32 v[62:63], v[62:63], v[170:171]
	v_mul_f64_e32 v[170:171], s[26:27], v[28:29]
	v_mul_f64_e32 v[180:181], s[16:17], v[18:19]
	v_add_f64_e32 v[42:43], v[158:159], v[42:43]
	v_mul_f64_e32 v[158:159], s[2:3], v[30:31]
	v_add_f64_e32 v[60:61], v[156:157], v[60:61]
	s_delay_alu instid0(VALU_DEP_2) | instskip(SKIP_1) | instid1(VALU_DEP_2)
	v_fma_f64 v[160:161], v[16:17], s[42:43], v[158:159]
	v_fma_f64 v[156:157], v[16:17], s[20:21], v[158:159]
	v_add_f64_e32 v[44:45], v[160:161], v[44:45]
	v_mul_f64_e32 v[160:161], s[30:31], v[28:29]
	s_delay_alu instid0(VALU_DEP_3) | instskip(NEXT) | instid1(VALU_DEP_2)
	v_add_f64_e32 v[62:63], v[156:157], v[62:63]
	v_fma_f64 v[164:165], v[8:9], s[8:9], v[160:161]
	v_fma_f64 v[156:157], v[8:9], s[8:9], -v[160:161]
	s_delay_alu instid0(VALU_DEP_2) | instskip(SKIP_1) | instid1(VALU_DEP_3)
	v_add_f64_e32 v[42:43], v[164:165], v[42:43]
	v_mul_f64_e32 v[164:165], s[8:9], v[26:27]
	v_add_f64_e32 v[60:61], v[156:157], v[60:61]
	s_delay_alu instid0(VALU_DEP_2) | instskip(SKIP_2) | instid1(VALU_DEP_3)
	v_fma_f64 v[166:167], v[10:11], s[34:35], v[164:165]
	v_fma_f64 v[156:157], v[10:11], s[30:31], v[164:165]
	v_mul_f64_e32 v[164:165], s[2:3], v[34:35]
	v_add_f64_e32 v[44:45], v[166:167], v[44:45]
	v_mul_f64_e32 v[166:167], s[28:29], v[20:21]
	s_delay_alu instid0(VALU_DEP_4) | instskip(NEXT) | instid1(VALU_DEP_4)
	v_add_f64_e32 v[62:63], v[156:157], v[62:63]
	v_fma_f64 v[160:161], v[24:25], s[42:43], v[164:165]
	s_delay_alu instid0(VALU_DEP_3) | instskip(SKIP_2) | instid1(VALU_DEP_4)
	v_fma_f64 v[168:169], v[4:5], s[14:15], v[166:167]
	v_fma_f64 v[156:157], v[4:5], s[14:15], -v[166:167]
	v_mul_f64_e32 v[166:167], s[38:39], v[32:33]
	v_add_f64_e32 v[160:161], v[160:161], v[182:183]
	v_mul_f64_e32 v[182:183], s[34:35], v[12:13]
	v_add_f64_e32 v[42:43], v[168:169], v[42:43]
	;; [unrolled: 2-line block ×3, first 2 shown]
	s_delay_alu instid0(VALU_DEP_2) | instskip(SKIP_2) | instid1(VALU_DEP_3)
	v_fma_f64 v[176:177], v[6:7], s[36:37], v[168:169]
	v_fma_f64 v[156:157], v[6:7], s[28:29], v[168:169]
	v_mul_f64_e32 v[168:169], s[12:13], v[30:31]
	v_add_f64_e32 v[44:45], v[176:177], v[44:45]
	v_mul_f64_e32 v[176:177], s[26:27], v[12:13]
	s_delay_alu instid0(VALU_DEP_4) | instskip(NEXT) | instid1(VALU_DEP_2)
	v_add_f64_e32 v[62:63], v[156:157], v[62:63]
	v_fma_f64 v[178:179], v[0:1], s[18:19], v[176:177]
	v_fma_f64 v[156:157], v[0:1], s[18:19], -v[176:177]
	v_mul_f64_e32 v[176:177], s[18:19], v[26:27]
	s_delay_alu instid0(VALU_DEP_3) | instskip(SKIP_1) | instid1(VALU_DEP_4)
	v_add_f64_e32 v[42:43], v[178:179], v[42:43]
	v_mul_f64_e32 v[178:179], s[18:19], v[253:254]
	v_add_f64_e32 v[156:157], v[156:157], v[60:61]
	v_mul_f64_e32 v[60:61], s[20:21], v[36:37]
	s_delay_alu instid0(VALU_DEP_3) | instskip(SKIP_2) | instid1(VALU_DEP_3)
	v_fma_f64 v[158:159], v[2:3], s[26:27], v[178:179]
	v_fma_f64 v[198:199], v[2:3], s[44:45], v[178:179]
	v_mul_f64_e32 v[178:179], s[22:23], v[20:21]
	v_add_f64_e32 v[158:159], v[158:159], v[62:63]
	v_fma_f64 v[62:63], v[22:23], s[2:3], v[60:61]
	v_fma_f64 v[60:61], v[22:23], s[2:3], -v[60:61]
	v_add_f64_e32 v[44:45], v[198:199], v[44:45]
	s_delay_alu instid0(VALU_DEP_3) | instskip(SKIP_1) | instid1(VALU_DEP_4)
	v_add_f64_e32 v[62:63], v[62:63], v[162:163]
	v_fma_f64 v[162:163], v[14:15], s[12:13], v[166:167]
	v_add_f64_e32 v[60:61], v[60:61], v[152:153]
	v_fma_f64 v[152:153], v[24:25], s[20:21], v[164:165]
	v_fma_f64 v[164:165], v[14:15], s[12:13], -v[166:167]
	s_delay_alu instid0(VALU_DEP_4) | instskip(SKIP_1) | instid1(VALU_DEP_4)
	v_add_f64_e32 v[62:63], v[162:163], v[62:63]
	v_fma_f64 v[162:163], v[16:17], s[24:25], v[168:169]
	v_add_f64_e32 v[152:153], v[152:153], v[172:173]
	s_delay_alu instid0(VALU_DEP_4) | instskip(SKIP_4) | instid1(VALU_DEP_4)
	v_add_f64_e32 v[60:61], v[164:165], v[60:61]
	v_fma_f64 v[164:165], v[16:17], s[38:39], v[168:169]
	v_mul_f64_e32 v[172:173], s[18:19], v[30:31]
	v_add_f64_e32 v[160:161], v[162:163], v[160:161]
	v_fma_f64 v[162:163], v[8:9], s[18:19], v[170:171]
	v_add_f64_e32 v[152:153], v[164:165], v[152:153]
	v_fma_f64 v[164:165], v[8:9], s[18:19], -v[170:171]
	s_delay_alu instid0(VALU_DEP_3) | instskip(SKIP_1) | instid1(VALU_DEP_3)
	v_add_f64_e32 v[62:63], v[162:163], v[62:63]
	v_fma_f64 v[162:163], v[10:11], s[44:45], v[176:177]
	v_add_f64_e32 v[60:61], v[164:165], v[60:61]
	v_fma_f64 v[164:165], v[10:11], s[26:27], v[176:177]
	v_mul_f64_e32 v[176:177], s[36:37], v[28:29]
	s_delay_alu instid0(VALU_DEP_4) | instskip(SKIP_1) | instid1(VALU_DEP_4)
	v_add_f64_e32 v[160:161], v[162:163], v[160:161]
	v_fma_f64 v[162:163], v[4:5], s[16:17], v[178:179]
	v_add_f64_e32 v[152:153], v[164:165], v[152:153]
	v_fma_f64 v[164:165], v[4:5], s[16:17], -v[178:179]
	v_mul_f64_e32 v[178:179], s[14:15], v[26:27]
	s_delay_alu instid0(VALU_DEP_4) | instskip(SKIP_1) | instid1(VALU_DEP_4)
	v_add_f64_e32 v[62:63], v[162:163], v[62:63]
	v_fma_f64 v[162:163], v[6:7], s[40:41], v[180:181]
	v_add_f64_e32 v[60:61], v[164:165], v[60:61]
	v_fma_f64 v[164:165], v[6:7], s[22:23], v[180:181]
	v_mul_f64_e32 v[180:181], s[42:43], v[20:21]
	s_delay_alu instid0(VALU_DEP_4) | instskip(SKIP_1) | instid1(VALU_DEP_4)
	v_add_f64_e32 v[162:163], v[162:163], v[160:161]
	v_fma_f64 v[160:161], v[0:1], s[8:9], v[182:183]
	v_add_f64_e32 v[152:153], v[164:165], v[152:153]
	v_fma_f64 v[164:165], v[0:1], s[8:9], -v[182:183]
	v_mul_f64_e32 v[182:183], s[2:3], v[18:19]
	s_delay_alu instid0(VALU_DEP_4) | instskip(SKIP_1) | instid1(VALU_DEP_4)
	v_add_f64_e32 v[160:161], v[160:161], v[62:63]
	v_mul_f64_e32 v[62:63], s[8:9], v[253:254]
	v_add_f64_e32 v[164:165], v[164:165], v[60:61]
	v_mul_f64_e32 v[60:61], s[30:31], v[36:37]
	s_delay_alu instid0(VALU_DEP_3) | instskip(SKIP_1) | instid1(VALU_DEP_2)
	v_fma_f64 v[198:199], v[2:3], s[30:31], v[62:63]
	v_fma_f64 v[62:63], v[2:3], s[34:35], v[62:63]
	v_add_f64_e32 v[162:163], v[198:199], v[162:163]
	s_delay_alu instid0(VALU_DEP_2) | instskip(SKIP_2) | instid1(VALU_DEP_2)
	v_add_f64_e32 v[166:167], v[62:63], v[152:153]
	v_fma_f64 v[62:63], v[22:23], s[8:9], v[60:61]
	v_mul_f64_e32 v[198:199], s[40:41], v[12:13]
	v_add_f64_e32 v[48:49], v[62:63], v[48:49]
	v_mul_f64_e32 v[62:63], s[8:9], v[34:35]
	s_delay_alu instid0(VALU_DEP_1) | instskip(NEXT) | instid1(VALU_DEP_1)
	v_fma_f64 v[152:153], v[24:25], s[34:35], v[62:63]
	v_add_f64_e32 v[50:51], v[152:153], v[50:51]
	v_mul_f64_e32 v[152:153], s[26:27], v[32:33]
	s_delay_alu instid0(VALU_DEP_1) | instskip(NEXT) | instid1(VALU_DEP_1)
	v_fma_f64 v[168:169], v[14:15], s[18:19], v[152:153]
	v_add_f64_e32 v[48:49], v[168:169], v[48:49]
	v_fma_f64 v[168:169], v[16:17], s[44:45], v[172:173]
	s_delay_alu instid0(VALU_DEP_1) | instskip(SKIP_1) | instid1(VALU_DEP_1)
	v_add_f64_e32 v[50:51], v[168:169], v[50:51]
	v_fma_f64 v[168:169], v[8:9], s[14:15], v[176:177]
	v_add_f64_e32 v[48:49], v[168:169], v[48:49]
	v_fma_f64 v[168:169], v[10:11], s[28:29], v[178:179]
	s_delay_alu instid0(VALU_DEP_1) | instskip(SKIP_1) | instid1(VALU_DEP_1)
	v_add_f64_e32 v[50:51], v[168:169], v[50:51]
	;; [unrolled: 5-line block ×3, first 2 shown]
	v_fma_f64 v[168:169], v[0:1], s[16:17], v[198:199]
	v_add_f64_e32 v[168:169], v[168:169], v[48:49]
	v_mul_f64_e32 v[48:49], s[16:17], v[253:254]
	s_delay_alu instid0(VALU_DEP_1) | instskip(SKIP_1) | instid1(VALU_DEP_2)
	v_fma_f64 v[170:171], v[2:3], s[22:23], v[48:49]
	v_fma_f64 v[48:49], v[2:3], s[40:41], v[48:49]
	v_add_f64_e32 v[170:171], v[170:171], v[50:51]
	v_fma_f64 v[50:51], v[22:23], s[8:9], -v[60:61]
	v_fma_f64 v[60:61], v[24:25], s[30:31], v[62:63]
	v_fma_f64 v[62:63], v[14:15], s[18:19], -v[152:153]
	v_mul_f64_e32 v[152:153], s[22:23], v[32:33]
	v_mul_f64_e32 v[32:33], s[34:35], v[32:33]
	v_add_f64_e32 v[50:51], v[50:51], v[154:155]
	v_add_f64_e32 v[60:61], v[60:61], v[174:175]
	s_delay_alu instid0(VALU_DEP_4) | instskip(NEXT) | instid1(VALU_DEP_3)
	v_fma_f64 v[154:155], v[14:15], s[16:17], v[152:153]
	v_add_f64_e32 v[50:51], v[62:63], v[50:51]
	v_fma_f64 v[62:63], v[16:17], s[26:27], v[172:173]
	s_delay_alu instid0(VALU_DEP_1) | instskip(SKIP_1) | instid1(VALU_DEP_1)
	v_add_f64_e32 v[60:61], v[62:63], v[60:61]
	v_fma_f64 v[62:63], v[8:9], s[14:15], -v[176:177]
	v_add_f64_e32 v[50:51], v[62:63], v[50:51]
	v_fma_f64 v[62:63], v[10:11], s[36:37], v[178:179]
	s_delay_alu instid0(VALU_DEP_1) | instskip(SKIP_3) | instid1(VALU_DEP_3)
	v_add_f64_e32 v[60:61], v[62:63], v[60:61]
	v_fma_f64 v[62:63], v[4:5], s[2:3], -v[180:181]
	v_mul_f64_e32 v[180:181], s[42:43], v[28:29]
	v_mul_f64_e32 v[28:29], s[40:41], v[28:29]
	v_add_f64_e32 v[50:51], v[62:63], v[50:51]
	v_fma_f64 v[62:63], v[6:7], s[42:43], v[182:183]
	v_mul_f64_e32 v[182:183], s[2:3], v[26:27]
	v_mul_f64_e32 v[26:27], s[16:17], v[26:27]
	s_delay_alu instid0(VALU_DEP_3) | instskip(SKIP_3) | instid1(VALU_DEP_4)
	v_add_f64_e32 v[60:61], v[62:63], v[60:61]
	v_fma_f64 v[62:63], v[0:1], s[16:17], -v[198:199]
	v_mul_f64_e32 v[198:199], s[24:25], v[12:13]
	v_mul_f64_e32 v[12:13], s[28:29], v[12:13]
	v_add_f64_e32 v[174:175], v[48:49], v[60:61]
	v_mul_f64_e32 v[48:49], s[28:29], v[36:37]
	v_add_f64_e32 v[172:173], v[62:63], v[50:51]
	v_mul_f64_e32 v[60:61], s[14:15], v[34:35]
	v_mul_f64_e32 v[36:37], s[26:27], v[36:37]
	;; [unrolled: 1-line block ×3, first 2 shown]
	v_fma_f64 v[50:51], v[22:23], s[14:15], v[48:49]
	v_fma_f64 v[48:49], v[22:23], s[14:15], -v[48:49]
	v_fma_f64 v[62:63], v[24:25], s[36:37], v[60:61]
	s_delay_alu instid0(VALU_DEP_3) | instskip(NEXT) | instid1(VALU_DEP_3)
	v_add_f64_e32 v[50:51], v[50:51], v[184:185]
	v_add_f64_e32 v[48:49], v[48:49], v[52:53]
	v_fma_f64 v[52:53], v[24:25], s[28:29], v[60:61]
	s_delay_alu instid0(VALU_DEP_4)
	v_add_f64_e32 v[62:63], v[62:63], v[186:187]
	v_mul_f64_e32 v[184:185], s[26:27], v[20:21]
	v_mul_f64_e32 v[186:187], s[18:19], v[18:19]
	v_add_f64_e32 v[50:51], v[154:155], v[50:51]
	v_mul_f64_e32 v[154:155], s[16:17], v[30:31]
	v_add_f64_e32 v[52:53], v[52:53], v[54:55]
	v_fma_f64 v[54:55], v[14:15], s[16:17], -v[152:153]
	v_mul_f64_e32 v[30:31], s[8:9], v[30:31]
	s_delay_alu instid0(VALU_DEP_4) | instskip(NEXT) | instid1(VALU_DEP_3)
	v_fma_f64 v[176:177], v[16:17], s[40:41], v[154:155]
	v_add_f64_e32 v[48:49], v[54:55], v[48:49]
	v_fma_f64 v[54:55], v[16:17], s[22:23], v[154:155]
	s_delay_alu instid0(VALU_DEP_3) | instskip(SKIP_1) | instid1(VALU_DEP_3)
	v_add_f64_e32 v[62:63], v[176:177], v[62:63]
	v_fma_f64 v[176:177], v[8:9], s[2:3], v[180:181]
	v_add_f64_e32 v[52:53], v[54:55], v[52:53]
	v_fma_f64 v[54:55], v[8:9], s[2:3], -v[180:181]
	s_delay_alu instid0(VALU_DEP_3) | instskip(SKIP_1) | instid1(VALU_DEP_3)
	v_add_f64_e32 v[50:51], v[176:177], v[50:51]
	v_fma_f64 v[176:177], v[10:11], s[20:21], v[182:183]
	v_add_f64_e32 v[48:49], v[54:55], v[48:49]
	v_fma_f64 v[54:55], v[10:11], s[42:43], v[182:183]
	s_delay_alu instid0(VALU_DEP_3) | instskip(SKIP_1) | instid1(VALU_DEP_3)
	v_add_f64_e32 v[62:63], v[176:177], v[62:63]
	v_fma_f64 v[176:177], v[4:5], s[18:19], v[184:185]
	v_add_f64_e32 v[52:53], v[54:55], v[52:53]
	v_fma_f64 v[54:55], v[4:5], s[18:19], -v[184:185]
	s_delay_alu instid0(VALU_DEP_3) | instskip(SKIP_1) | instid1(VALU_DEP_3)
	v_add_f64_e32 v[50:51], v[176:177], v[50:51]
	v_fma_f64 v[176:177], v[6:7], s[44:45], v[186:187]
	v_add_f64_e32 v[48:49], v[54:55], v[48:49]
	v_fma_f64 v[54:55], v[6:7], s[26:27], v[186:187]
	s_delay_alu instid0(VALU_DEP_3) | instskip(SKIP_1) | instid1(VALU_DEP_3)
	v_add_f64_e32 v[62:63], v[176:177], v[62:63]
	v_fma_f64 v[176:177], v[0:1], s[12:13], v[198:199]
	v_add_f64_e32 v[52:53], v[54:55], v[52:53]
	v_fma_f64 v[54:55], v[0:1], s[12:13], -v[198:199]
	v_mul_f64_e32 v[198:199], s[24:25], v[236:237]
	s_delay_alu instid0(VALU_DEP_4) | instskip(SKIP_1) | instid1(VALU_DEP_4)
	v_add_f64_e32 v[176:177], v[176:177], v[50:51]
	v_mul_f64_e32 v[50:51], s[12:13], v[253:254]
	v_add_f64_e32 v[180:181], v[54:55], v[48:49]
	v_fma_f64 v[48:49], v[22:23], s[18:19], v[36:37]
	v_fma_f64 v[22:23], v[22:23], s[18:19], -v[36:37]
	v_mul_f64_e32 v[54:55], s[14:15], v[253:254]
	v_mul_f64_e32 v[253:254], s[22:23], v[244:245]
	v_fma_f64 v[178:179], v[2:3], s[38:39], v[50:51]
	v_fma_f64 v[50:51], v[2:3], s[24:25], v[50:51]
	v_add_f64_e32 v[48:49], v[48:49], v[56:57]
	v_add_f64_e32 v[22:23], v[22:23], v[194:195]
	v_mul_f64_e32 v[194:195], s[34:35], v[232:233]
	v_add_f64_e32 v[178:179], v[178:179], v[62:63]
	v_add_f64_e32 v[182:183], v[50:51], v[52:53]
	v_fma_f64 v[50:51], v[24:25], s[44:45], v[34:35]
	v_fma_f64 v[52:53], v[14:15], s[8:9], v[32:33]
	;; [unrolled: 1-line block ×3, first 2 shown]
	v_fma_f64 v[14:15], v[14:15], s[8:9], -v[32:33]
	s_delay_alu instid0(VALU_DEP_4) | instskip(NEXT) | instid1(VALU_DEP_4)
	v_add_f64_e32 v[50:51], v[50:51], v[58:59]
	v_add_f64_e32 v[48:49], v[52:53], v[48:49]
	v_fma_f64 v[52:53], v[16:17], s[30:31], v[30:31]
	v_add_f64_e32 v[24:25], v[24:25], v[196:197]
	v_fma_f64 v[16:17], v[16:17], s[34:35], v[30:31]
	v_add_f64_e32 v[14:15], v[14:15], v[22:23]
	v_mul_f64_e32 v[196:197], s[20:21], v[230:231]
	v_add_f64_e32 v[50:51], v[52:53], v[50:51]
	v_fma_f64 v[52:53], v[8:9], s[16:17], v[28:29]
	v_add_f64_e32 v[16:17], v[16:17], v[24:25]
	v_fma_f64 v[8:9], v[8:9], s[16:17], -v[28:29]
	s_delay_alu instid0(VALU_DEP_3) | instskip(SKIP_2) | instid1(VALU_DEP_4)
	v_add_f64_e32 v[48:49], v[52:53], v[48:49]
	v_fma_f64 v[52:53], v[10:11], s[22:23], v[26:27]
	v_fma_f64 v[10:11], v[10:11], s[40:41], v[26:27]
	v_add_f64_e32 v[8:9], v[8:9], v[14:15]
	v_mul_f64_e32 v[14:15], s[44:45], v[251:252]
	s_delay_alu instid0(VALU_DEP_4) | instskip(SKIP_2) | instid1(VALU_DEP_2)
	v_add_f64_e32 v[50:51], v[52:53], v[50:51]
	v_mul_f64_e32 v[52:53], s[24:25], v[20:21]
	v_add_f64_e32 v[10:11], v[10:11], v[16:17]
	v_fma_f64 v[20:21], v[4:5], s[12:13], v[52:53]
	v_fma_f64 v[4:5], v[4:5], s[12:13], -v[52:53]
	s_delay_alu instid0(VALU_DEP_2) | instskip(SKIP_1) | instid1(VALU_DEP_3)
	v_add_f64_e32 v[20:21], v[20:21], v[48:49]
	v_mul_f64_e32 v[48:49], s[12:13], v[18:19]
	v_add_f64_e32 v[4:5], v[4:5], v[8:9]
	s_delay_alu instid0(VALU_DEP_2) | instskip(SKIP_1) | instid1(VALU_DEP_2)
	v_fma_f64 v[18:19], v[6:7], s[38:39], v[48:49]
	v_fma_f64 v[6:7], v[6:7], s[24:25], v[48:49]
	v_add_f64_e32 v[50:51], v[18:19], v[50:51]
	v_fma_f64 v[18:19], v[0:1], s[14:15], v[12:13]
	s_delay_alu instid0(VALU_DEP_3) | instskip(SKIP_2) | instid1(VALU_DEP_4)
	v_add_f64_e32 v[6:7], v[6:7], v[10:11]
	v_fma_f64 v[0:1], v[0:1], s[14:15], -v[12:13]
	v_mul_f64_e32 v[10:11], s[44:45], v[192:193]
	v_add_f64_e32 v[18:19], v[18:19], v[20:21]
	v_fma_f64 v[20:21], v[2:3], s[36:37], v[54:55]
	v_fma_f64 v[2:3], v[2:3], s[28:29], v[54:55]
	v_add_f64_e32 v[22:23], v[0:1], v[4:5]
	v_fma_f64 v[0:1], v[224:225], s[18:19], v[10:11]
	s_delay_alu instid0(VALU_DEP_4) | instskip(NEXT) | instid1(VALU_DEP_4)
	v_add_f64_e32 v[20:21], v[20:21], v[50:51]
	v_add_f64_e32 v[24:25], v[2:3], v[6:7]
	v_fma_f64 v[2:3], v[218:219], s[16:17], v[253:254]
	s_delay_alu instid0(VALU_DEP_4)
	v_add_f64_e32 v[0:1], v[188:189], v[0:1]
	ds_store_b128 v47, v[200:203]
	ds_store_b128 v47, v[38:41] offset:16
	ds_store_b128 v47, v[42:45] offset:32
	;; [unrolled: 1-line block ×12, first 2 shown]
	v_add_f64_e32 v[4:5], v[2:3], v[0:1]
	v_fma_f64 v[0:1], v[226:227], s[18:19], -v[14:15]
	v_mul_f64_e32 v[2:3], s[22:23], v[246:247]
	s_delay_alu instid0(VALU_DEP_2) | instskip(NEXT) | instid1(VALU_DEP_2)
	v_add_f64_e32 v[0:1], v[190:191], v[0:1]
	v_fma_f64 v[6:7], v[222:223], s[16:17], -v[2:3]
	s_delay_alu instid0(VALU_DEP_1) | instskip(SKIP_1) | instid1(VALU_DEP_1)
	v_add_f64_e32 v[6:7], v[6:7], v[0:1]
	v_mul_f64_e32 v[0:1], s[36:37], v[240:241]
	v_fma_f64 v[8:9], v[214:215], s[14:15], v[0:1]
	s_delay_alu instid0(VALU_DEP_1) | instskip(SKIP_1) | instid1(VALU_DEP_1)
	v_add_f64_e32 v[8:9], v[8:9], v[4:5]
	v_mul_f64_e32 v[4:5], s[36:37], v[242:243]
	v_fma_f64 v[12:13], v[220:221], s[14:15], -v[4:5]
	s_delay_alu instid0(VALU_DEP_1) | instskip(SKIP_1) | instid1(VALU_DEP_1)
	v_add_f64_e32 v[12:13], v[12:13], v[6:7]
	v_fma_f64 v[6:7], v[208:209], s[12:13], v[198:199]
	v_add_f64_e32 v[8:9], v[6:7], v[8:9]
	v_mul_f64_e32 v[6:7], s[24:25], v[238:239]
	s_delay_alu instid0(VALU_DEP_1) | instskip(NEXT) | instid1(VALU_DEP_1)
	v_fma_f64 v[16:17], v[216:217], s[12:13], -v[6:7]
	v_add_f64_e32 v[12:13], v[16:17], v[12:13]
	v_fma_f64 v[16:17], v[206:207], s[8:9], v[194:195]
	s_delay_alu instid0(VALU_DEP_1) | instskip(SKIP_1) | instid1(VALU_DEP_1)
	v_add_f64_e32 v[16:17], v[16:17], v[8:9]
	v_mul_f64_e32 v[8:9], s[34:35], v[234:235]
	v_fma_f64 v[26:27], v[212:213], s[8:9], -v[8:9]
	s_delay_alu instid0(VALU_DEP_1) | instskip(SKIP_1) | instid1(VALU_DEP_1)
	v_add_f64_e32 v[26:27], v[26:27], v[12:13]
	v_fma_f64 v[12:13], v[204:205], s[2:3], v[196:197]
	v_add_f64_e32 v[152:153], v[12:13], v[16:17]
	v_mul_f64_e32 v[12:13], s[20:21], v[228:229]
	s_delay_alu instid0(VALU_DEP_1) | instskip(NEXT) | instid1(VALU_DEP_1)
	v_fma_f64 v[16:17], v[210:211], s[2:3], -v[12:13]
	v_add_f64_e32 v[154:155], v[16:17], v[26:27]
	s_and_saveexec_b32 s1, vcc_lo
	s_cbranch_execz .LBB0_17
; %bb.16:
	v_mul_f64_e32 v[16:17], s[20:21], v[251:252]
	v_mul_f64_e32 v[20:21], s[26:27], v[246:247]
	;; [unrolled: 1-line block ×4, first 2 shown]
	s_delay_alu instid0(VALU_DEP_4) | instskip(NEXT) | instid1(VALU_DEP_4)
	v_fma_f64 v[18:19], v[226:227], s[2:3], v[16:17]
	v_fma_f64 v[22:23], v[222:223], s[18:19], v[20:21]
	s_delay_alu instid0(VALU_DEP_4) | instskip(SKIP_3) | instid1(VALU_DEP_3)
	v_fma_f64 v[28:29], v[218:219], s[18:19], -v[26:27]
	v_fma_f64 v[16:17], v[226:227], s[2:3], -v[16:17]
	;; [unrolled: 1-line block ×3, first 2 shown]
	v_add_f64_e32 v[18:19], v[190:191], v[18:19]
	v_add_f64_e32 v[16:17], v[190:191], v[16:17]
	s_delay_alu instid0(VALU_DEP_2) | instskip(SKIP_1) | instid1(VALU_DEP_3)
	v_add_f64_e32 v[18:19], v[22:23], v[18:19]
	v_mul_f64_e32 v[22:23], s[20:21], v[192:193]
	v_add_f64_e32 v[16:17], v[20:21], v[16:17]
	s_delay_alu instid0(VALU_DEP_2) | instskip(SKIP_3) | instid1(VALU_DEP_4)
	v_fma_f64 v[24:25], v[224:225], s[2:3], -v[22:23]
	v_fma_f64 v[20:21], v[224:225], s[2:3], v[22:23]
	v_fma_f64 v[22:23], v[218:219], s[18:19], v[26:27]
	v_mul_f64_e32 v[26:27], s[28:29], v[244:245]
	v_add_f64_e32 v[24:25], v[188:189], v[24:25]
	s_delay_alu instid0(VALU_DEP_4) | instskip(NEXT) | instid1(VALU_DEP_2)
	v_add_f64_e32 v[20:21], v[188:189], v[20:21]
	v_add_f64_e32 v[24:25], v[28:29], v[24:25]
	v_mul_f64_e32 v[28:29], s[34:35], v[242:243]
	s_delay_alu instid0(VALU_DEP_3) | instskip(NEXT) | instid1(VALU_DEP_2)
	v_add_f64_e32 v[20:21], v[22:23], v[20:21]
	v_fma_f64 v[30:31], v[220:221], s[8:9], v[28:29]
	v_fma_f64 v[22:23], v[220:221], s[8:9], -v[28:29]
	v_fma_f64 v[28:29], v[218:219], s[14:15], -v[26:27]
	s_delay_alu instid0(VALU_DEP_3) | instskip(SKIP_1) | instid1(VALU_DEP_4)
	v_add_f64_e32 v[18:19], v[30:31], v[18:19]
	v_mul_f64_e32 v[30:31], s[34:35], v[240:241]
	v_add_f64_e32 v[16:17], v[22:23], v[16:17]
	s_delay_alu instid0(VALU_DEP_2) | instskip(SKIP_1) | instid1(VALU_DEP_2)
	v_fma_f64 v[32:33], v[214:215], s[8:9], -v[30:31]
	v_fma_f64 v[22:23], v[214:215], s[8:9], v[30:31]
	v_add_f64_e32 v[24:25], v[32:33], v[24:25]
	v_mul_f64_e32 v[32:33], s[40:41], v[238:239]
	s_delay_alu instid0(VALU_DEP_3) | instskip(NEXT) | instid1(VALU_DEP_2)
	v_add_f64_e32 v[20:21], v[22:23], v[20:21]
	v_fma_f64 v[34:35], v[216:217], s[16:17], v[32:33]
	v_fma_f64 v[22:23], v[216:217], s[16:17], -v[32:33]
	s_delay_alu instid0(VALU_DEP_2) | instskip(SKIP_1) | instid1(VALU_DEP_3)
	v_add_f64_e32 v[18:19], v[34:35], v[18:19]
	v_mul_f64_e32 v[34:35], s[40:41], v[236:237]
	v_add_f64_e32 v[16:17], v[22:23], v[16:17]
	s_delay_alu instid0(VALU_DEP_2) | instskip(SKIP_1) | instid1(VALU_DEP_2)
	v_fma_f64 v[36:37], v[208:209], s[16:17], -v[34:35]
	v_fma_f64 v[22:23], v[208:209], s[16:17], v[34:35]
	v_add_f64_e32 v[24:25], v[36:37], v[24:25]
	v_mul_f64_e32 v[36:37], s[24:25], v[234:235]
	s_delay_alu instid0(VALU_DEP_3) | instskip(NEXT) | instid1(VALU_DEP_2)
	v_add_f64_e32 v[20:21], v[22:23], v[20:21]
	v_fma_f64 v[38:39], v[212:213], s[12:13], v[36:37]
	v_fma_f64 v[22:23], v[212:213], s[12:13], -v[36:37]
	s_delay_alu instid0(VALU_DEP_2) | instskip(SKIP_1) | instid1(VALU_DEP_3)
	;; [unrolled: 13-line block ×3, first 2 shown]
	v_add_f64_e32 v[158:159], v[42:43], v[18:19]
	v_mul_f64_e32 v[18:19], s[28:29], v[230:231]
	v_add_f64_e32 v[162:163], v[22:23], v[16:17]
	v_mul_f64_e32 v[16:17], s[34:35], v[251:252]
	s_delay_alu instid0(VALU_DEP_3) | instskip(SKIP_1) | instid1(VALU_DEP_2)
	v_fma_f64 v[42:43], v[204:205], s[14:15], -v[18:19]
	v_fma_f64 v[18:19], v[204:205], s[14:15], v[18:19]
	v_add_f64_e32 v[156:157], v[42:43], v[24:25]
	s_delay_alu instid0(VALU_DEP_2) | instskip(SKIP_3) | instid1(VALU_DEP_3)
	v_add_f64_e32 v[160:161], v[18:19], v[20:21]
	v_fma_f64 v[18:19], v[226:227], s[8:9], v[16:17]
	v_mul_f64_e32 v[20:21], s[28:29], v[246:247]
	v_fma_f64 v[16:17], v[226:227], s[8:9], -v[16:17]
	v_add_f64_e32 v[18:19], v[190:191], v[18:19]
	s_delay_alu instid0(VALU_DEP_3) | instskip(SKIP_1) | instid1(VALU_DEP_4)
	v_fma_f64 v[22:23], v[222:223], s[14:15], v[20:21]
	v_fma_f64 v[20:21], v[222:223], s[14:15], -v[20:21]
	v_add_f64_e32 v[16:17], v[190:191], v[16:17]
	s_delay_alu instid0(VALU_DEP_3) | instskip(SKIP_1) | instid1(VALU_DEP_3)
	v_add_f64_e32 v[18:19], v[22:23], v[18:19]
	v_mul_f64_e32 v[22:23], s[34:35], v[192:193]
	v_add_f64_e32 v[16:17], v[20:21], v[16:17]
	s_delay_alu instid0(VALU_DEP_2) | instskip(SKIP_3) | instid1(VALU_DEP_4)
	v_fma_f64 v[24:25], v[224:225], s[8:9], -v[22:23]
	v_fma_f64 v[20:21], v[224:225], s[8:9], v[22:23]
	v_fma_f64 v[22:23], v[218:219], s[14:15], v[26:27]
	v_mul_f64_e32 v[26:27], s[30:31], v[244:245]
	v_add_f64_e32 v[24:25], v[188:189], v[24:25]
	s_delay_alu instid0(VALU_DEP_4) | instskip(NEXT) | instid1(VALU_DEP_2)
	v_add_f64_e32 v[20:21], v[188:189], v[20:21]
	v_add_f64_e32 v[24:25], v[28:29], v[24:25]
	v_mul_f64_e32 v[28:29], s[22:23], v[242:243]
	s_delay_alu instid0(VALU_DEP_3) | instskip(NEXT) | instid1(VALU_DEP_2)
	v_add_f64_e32 v[20:21], v[22:23], v[20:21]
	v_fma_f64 v[30:31], v[220:221], s[16:17], v[28:29]
	v_fma_f64 v[22:23], v[220:221], s[16:17], -v[28:29]
	v_fma_f64 v[28:29], v[218:219], s[8:9], -v[26:27]
	s_delay_alu instid0(VALU_DEP_3) | instskip(SKIP_1) | instid1(VALU_DEP_4)
	v_add_f64_e32 v[18:19], v[30:31], v[18:19]
	v_mul_f64_e32 v[30:31], s[22:23], v[240:241]
	v_add_f64_e32 v[16:17], v[22:23], v[16:17]
	s_delay_alu instid0(VALU_DEP_2) | instskip(SKIP_1) | instid1(VALU_DEP_2)
	v_fma_f64 v[32:33], v[214:215], s[16:17], -v[30:31]
	v_fma_f64 v[22:23], v[214:215], s[16:17], v[30:31]
	v_add_f64_e32 v[24:25], v[32:33], v[24:25]
	v_mul_f64_e32 v[32:33], s[42:43], v[238:239]
	s_delay_alu instid0(VALU_DEP_3) | instskip(NEXT) | instid1(VALU_DEP_2)
	v_add_f64_e32 v[20:21], v[22:23], v[20:21]
	v_fma_f64 v[34:35], v[216:217], s[2:3], v[32:33]
	v_fma_f64 v[22:23], v[216:217], s[2:3], -v[32:33]
	s_delay_alu instid0(VALU_DEP_2) | instskip(SKIP_1) | instid1(VALU_DEP_3)
	v_add_f64_e32 v[18:19], v[34:35], v[18:19]
	v_mul_f64_e32 v[34:35], s[42:43], v[236:237]
	v_add_f64_e32 v[16:17], v[22:23], v[16:17]
	s_delay_alu instid0(VALU_DEP_2) | instskip(SKIP_1) | instid1(VALU_DEP_2)
	v_fma_f64 v[36:37], v[208:209], s[2:3], -v[34:35]
	v_fma_f64 v[22:23], v[208:209], s[2:3], v[34:35]
	v_add_f64_e32 v[24:25], v[36:37], v[24:25]
	v_mul_f64_e32 v[36:37], s[26:27], v[234:235]
	s_delay_alu instid0(VALU_DEP_3) | instskip(NEXT) | instid1(VALU_DEP_2)
	v_add_f64_e32 v[20:21], v[22:23], v[20:21]
	v_fma_f64 v[38:39], v[212:213], s[18:19], v[36:37]
	v_fma_f64 v[22:23], v[212:213], s[18:19], -v[36:37]
	s_delay_alu instid0(VALU_DEP_2) | instskip(SKIP_1) | instid1(VALU_DEP_3)
	;; [unrolled: 13-line block ×3, first 2 shown]
	v_add_f64_e32 v[166:167], v[42:43], v[18:19]
	v_mul_f64_e32 v[18:19], s[24:25], v[230:231]
	v_add_f64_e32 v[170:171], v[22:23], v[16:17]
	v_mul_f64_e32 v[16:17], s[24:25], v[251:252]
	s_delay_alu instid0(VALU_DEP_3) | instskip(SKIP_1) | instid1(VALU_DEP_2)
	v_fma_f64 v[42:43], v[204:205], s[12:13], -v[18:19]
	v_fma_f64 v[18:19], v[204:205], s[12:13], v[18:19]
	v_add_f64_e32 v[164:165], v[42:43], v[24:25]
	s_delay_alu instid0(VALU_DEP_2) | instskip(SKIP_3) | instid1(VALU_DEP_3)
	v_add_f64_e32 v[168:169], v[18:19], v[20:21]
	v_fma_f64 v[18:19], v[226:227], s[12:13], v[16:17]
	v_mul_f64_e32 v[20:21], s[30:31], v[246:247]
	v_fma_f64 v[16:17], v[226:227], s[12:13], -v[16:17]
	v_add_f64_e32 v[18:19], v[190:191], v[18:19]
	s_delay_alu instid0(VALU_DEP_3) | instskip(SKIP_1) | instid1(VALU_DEP_4)
	v_fma_f64 v[22:23], v[222:223], s[8:9], v[20:21]
	v_fma_f64 v[20:21], v[222:223], s[8:9], -v[20:21]
	v_add_f64_e32 v[16:17], v[190:191], v[16:17]
	s_delay_alu instid0(VALU_DEP_3) | instskip(SKIP_1) | instid1(VALU_DEP_3)
	v_add_f64_e32 v[18:19], v[22:23], v[18:19]
	v_mul_f64_e32 v[22:23], s[24:25], v[192:193]
	v_add_f64_e32 v[16:17], v[20:21], v[16:17]
	s_delay_alu instid0(VALU_DEP_2) | instskip(SKIP_3) | instid1(VALU_DEP_4)
	v_fma_f64 v[24:25], v[224:225], s[12:13], -v[22:23]
	v_fma_f64 v[20:21], v[224:225], s[12:13], v[22:23]
	v_fma_f64 v[22:23], v[218:219], s[8:9], v[26:27]
	v_mul_f64_e32 v[26:27], s[20:21], v[244:245]
	v_add_f64_e32 v[24:25], v[188:189], v[24:25]
	s_delay_alu instid0(VALU_DEP_4) | instskip(NEXT) | instid1(VALU_DEP_2)
	v_add_f64_e32 v[20:21], v[188:189], v[20:21]
	v_add_f64_e32 v[24:25], v[28:29], v[24:25]
	v_mul_f64_e32 v[28:29], s[26:27], v[242:243]
	s_delay_alu instid0(VALU_DEP_3) | instskip(NEXT) | instid1(VALU_DEP_2)
	v_add_f64_e32 v[20:21], v[22:23], v[20:21]
	v_fma_f64 v[30:31], v[220:221], s[18:19], v[28:29]
	v_fma_f64 v[22:23], v[220:221], s[18:19], -v[28:29]
	v_fma_f64 v[28:29], v[218:219], s[2:3], -v[26:27]
	s_delay_alu instid0(VALU_DEP_3) | instskip(SKIP_1) | instid1(VALU_DEP_4)
	v_add_f64_e32 v[18:19], v[30:31], v[18:19]
	v_mul_f64_e32 v[30:31], s[26:27], v[240:241]
	v_add_f64_e32 v[16:17], v[22:23], v[16:17]
	s_delay_alu instid0(VALU_DEP_2) | instskip(SKIP_1) | instid1(VALU_DEP_2)
	v_fma_f64 v[32:33], v[214:215], s[18:19], -v[30:31]
	v_fma_f64 v[22:23], v[214:215], s[18:19], v[30:31]
	v_add_f64_e32 v[24:25], v[32:33], v[24:25]
	v_mul_f64_e32 v[32:33], s[36:37], v[238:239]
	s_delay_alu instid0(VALU_DEP_3) | instskip(NEXT) | instid1(VALU_DEP_2)
	v_add_f64_e32 v[20:21], v[22:23], v[20:21]
	v_fma_f64 v[34:35], v[216:217], s[14:15], v[32:33]
	v_fma_f64 v[22:23], v[216:217], s[14:15], -v[32:33]
	s_delay_alu instid0(VALU_DEP_2) | instskip(SKIP_1) | instid1(VALU_DEP_3)
	v_add_f64_e32 v[18:19], v[34:35], v[18:19]
	v_mul_f64_e32 v[34:35], s[36:37], v[236:237]
	v_add_f64_e32 v[16:17], v[22:23], v[16:17]
	s_delay_alu instid0(VALU_DEP_2) | instskip(SKIP_1) | instid1(VALU_DEP_2)
	v_fma_f64 v[36:37], v[208:209], s[14:15], -v[34:35]
	v_fma_f64 v[22:23], v[208:209], s[14:15], v[34:35]
	v_add_f64_e32 v[24:25], v[36:37], v[24:25]
	v_mul_f64_e32 v[36:37], s[42:43], v[234:235]
	s_delay_alu instid0(VALU_DEP_3) | instskip(NEXT) | instid1(VALU_DEP_2)
	v_add_f64_e32 v[20:21], v[22:23], v[20:21]
	v_fma_f64 v[38:39], v[212:213], s[2:3], v[36:37]
	v_fma_f64 v[22:23], v[212:213], s[2:3], -v[36:37]
	s_delay_alu instid0(VALU_DEP_2) | instskip(SKIP_1) | instid1(VALU_DEP_3)
	;; [unrolled: 13-line block ×3, first 2 shown]
	v_add_f64_e32 v[174:175], v[42:43], v[18:19]
	v_mul_f64_e32 v[18:19], s[40:41], v[230:231]
	v_add_f64_e32 v[178:179], v[22:23], v[16:17]
	v_mul_f64_e32 v[16:17], s[36:37], v[251:252]
	s_delay_alu instid0(VALU_DEP_3) | instskip(SKIP_1) | instid1(VALU_DEP_2)
	v_fma_f64 v[42:43], v[204:205], s[16:17], -v[18:19]
	v_fma_f64 v[18:19], v[204:205], s[16:17], v[18:19]
	v_add_f64_e32 v[172:173], v[42:43], v[24:25]
	s_delay_alu instid0(VALU_DEP_2) | instskip(SKIP_3) | instid1(VALU_DEP_3)
	v_add_f64_e32 v[176:177], v[18:19], v[20:21]
	v_fma_f64 v[18:19], v[226:227], s[14:15], v[16:17]
	v_mul_f64_e32 v[20:21], s[20:21], v[246:247]
	v_fma_f64 v[16:17], v[226:227], s[14:15], -v[16:17]
	v_add_f64_e32 v[18:19], v[190:191], v[18:19]
	s_delay_alu instid0(VALU_DEP_3) | instskip(SKIP_1) | instid1(VALU_DEP_4)
	v_fma_f64 v[22:23], v[222:223], s[2:3], v[20:21]
	v_fma_f64 v[20:21], v[222:223], s[2:3], -v[20:21]
	v_add_f64_e32 v[16:17], v[190:191], v[16:17]
	s_delay_alu instid0(VALU_DEP_3) | instskip(SKIP_1) | instid1(VALU_DEP_3)
	v_add_f64_e32 v[18:19], v[22:23], v[18:19]
	v_mul_f64_e32 v[22:23], s[36:37], v[192:193]
	v_add_f64_e32 v[16:17], v[20:21], v[16:17]
	s_delay_alu instid0(VALU_DEP_2) | instskip(SKIP_3) | instid1(VALU_DEP_4)
	v_fma_f64 v[24:25], v[224:225], s[14:15], -v[22:23]
	v_fma_f64 v[20:21], v[224:225], s[14:15], v[22:23]
	v_fma_f64 v[22:23], v[218:219], s[2:3], v[26:27]
	v_mul_f64_e32 v[26:27], s[24:25], v[244:245]
	v_add_f64_e32 v[24:25], v[188:189], v[24:25]
	s_delay_alu instid0(VALU_DEP_4) | instskip(NEXT) | instid1(VALU_DEP_2)
	v_add_f64_e32 v[20:21], v[188:189], v[20:21]
	v_add_f64_e32 v[24:25], v[28:29], v[24:25]
	v_mul_f64_e32 v[28:29], s[38:39], v[242:243]
	s_delay_alu instid0(VALU_DEP_3) | instskip(NEXT) | instid1(VALU_DEP_2)
	v_add_f64_e32 v[20:21], v[22:23], v[20:21]
	v_fma_f64 v[30:31], v[220:221], s[12:13], v[28:29]
	v_fma_f64 v[22:23], v[220:221], s[12:13], -v[28:29]
	v_fma_f64 v[28:29], v[218:219], s[12:13], -v[26:27]
	s_delay_alu instid0(VALU_DEP_3) | instskip(SKIP_1) | instid1(VALU_DEP_4)
	v_add_f64_e32 v[18:19], v[30:31], v[18:19]
	v_mul_f64_e32 v[30:31], s[38:39], v[240:241]
	v_add_f64_e32 v[16:17], v[22:23], v[16:17]
	s_delay_alu instid0(VALU_DEP_2) | instskip(SKIP_1) | instid1(VALU_DEP_2)
	v_fma_f64 v[32:33], v[214:215], s[12:13], -v[30:31]
	v_fma_f64 v[22:23], v[214:215], s[12:13], v[30:31]
	v_add_f64_e32 v[24:25], v[32:33], v[24:25]
	v_mul_f64_e32 v[32:33], s[26:27], v[238:239]
	s_delay_alu instid0(VALU_DEP_3) | instskip(NEXT) | instid1(VALU_DEP_2)
	v_add_f64_e32 v[20:21], v[22:23], v[20:21]
	v_fma_f64 v[34:35], v[216:217], s[18:19], v[32:33]
	v_fma_f64 v[22:23], v[216:217], s[18:19], -v[32:33]
	s_delay_alu instid0(VALU_DEP_2) | instskip(SKIP_1) | instid1(VALU_DEP_3)
	v_add_f64_e32 v[18:19], v[34:35], v[18:19]
	v_mul_f64_e32 v[34:35], s[26:27], v[236:237]
	v_add_f64_e32 v[16:17], v[22:23], v[16:17]
	s_delay_alu instid0(VALU_DEP_2) | instskip(SKIP_1) | instid1(VALU_DEP_2)
	v_fma_f64 v[36:37], v[208:209], s[18:19], -v[34:35]
	v_fma_f64 v[22:23], v[208:209], s[18:19], v[34:35]
	v_add_f64_e32 v[24:25], v[36:37], v[24:25]
	v_mul_f64_e32 v[36:37], s[22:23], v[234:235]
	s_delay_alu instid0(VALU_DEP_3) | instskip(NEXT) | instid1(VALU_DEP_2)
	v_add_f64_e32 v[20:21], v[22:23], v[20:21]
	v_fma_f64 v[38:39], v[212:213], s[16:17], v[36:37]
	v_fma_f64 v[22:23], v[212:213], s[16:17], -v[36:37]
	s_delay_alu instid0(VALU_DEP_2) | instskip(SKIP_1) | instid1(VALU_DEP_3)
	;; [unrolled: 13-line block ×3, first 2 shown]
	v_add_f64_e32 v[182:183], v[42:43], v[18:19]
	v_mul_f64_e32 v[18:19], s[34:35], v[230:231]
	v_add_f64_e32 v[186:187], v[22:23], v[16:17]
	v_mul_f64_e32 v[22:23], s[24:25], v[246:247]
	s_delay_alu instid0(VALU_DEP_3) | instskip(SKIP_1) | instid1(VALU_DEP_2)
	v_fma_f64 v[42:43], v[204:205], s[8:9], -v[18:19]
	v_fma_f64 v[18:19], v[204:205], s[8:9], v[18:19]
	v_add_f64_e32 v[180:181], v[42:43], v[24:25]
	s_delay_alu instid0(VALU_DEP_2)
	v_add_f64_e32 v[184:185], v[18:19], v[20:21]
	v_mul_f64_e32 v[20:21], s[22:23], v[251:252]
	v_fma_f64 v[18:19], v[222:223], s[12:13], v[22:23]
	v_mul_f64_e32 v[24:25], s[22:23], v[192:193]
	v_fma_f64 v[22:23], v[222:223], s[12:13], -v[22:23]
	v_mul_f64_e32 v[42:43], s[26:27], v[228:229]
	v_fma_f64 v[16:17], v[226:227], s[16:17], v[20:21]
	v_fma_f64 v[20:21], v[226:227], s[16:17], -v[20:21]
	s_delay_alu instid0(VALU_DEP_2) | instskip(NEXT) | instid1(VALU_DEP_2)
	v_add_f64_e32 v[16:17], v[190:191], v[16:17]
	v_add_f64_e32 v[20:21], v[190:191], v[20:21]
	s_delay_alu instid0(VALU_DEP_2) | instskip(SKIP_1) | instid1(VALU_DEP_3)
	v_add_f64_e32 v[16:17], v[18:19], v[16:17]
	v_fma_f64 v[18:19], v[224:225], s[16:17], -v[24:25]
	v_add_f64_e32 v[20:21], v[22:23], v[20:21]
	s_delay_alu instid0(VALU_DEP_2) | instskip(NEXT) | instid1(VALU_DEP_1)
	v_add_f64_e32 v[18:19], v[188:189], v[18:19]
	v_add_f64_e32 v[18:19], v[28:29], v[18:19]
	v_mul_f64_e32 v[28:29], s[20:21], v[242:243]
	s_delay_alu instid0(VALU_DEP_1) | instskip(SKIP_1) | instid1(VALU_DEP_2)
	v_fma_f64 v[30:31], v[220:221], s[2:3], v[28:29]
	v_fma_f64 v[22:23], v[220:221], s[2:3], -v[28:29]
	v_add_f64_e32 v[16:17], v[30:31], v[16:17]
	v_mul_f64_e32 v[30:31], s[20:21], v[240:241]
	s_delay_alu instid0(VALU_DEP_3) | instskip(NEXT) | instid1(VALU_DEP_2)
	v_add_f64_e32 v[20:21], v[22:23], v[20:21]
	v_fma_f64 v[32:33], v[214:215], s[2:3], -v[30:31]
	s_delay_alu instid0(VALU_DEP_1) | instskip(SKIP_1) | instid1(VALU_DEP_1)
	v_add_f64_e32 v[18:19], v[32:33], v[18:19]
	v_mul_f64_e32 v[32:33], s[30:31], v[238:239]
	v_fma_f64 v[34:35], v[216:217], s[8:9], v[32:33]
	v_fma_f64 v[22:23], v[216:217], s[8:9], -v[32:33]
	s_delay_alu instid0(VALU_DEP_2) | instskip(SKIP_1) | instid1(VALU_DEP_3)
	v_add_f64_e32 v[16:17], v[34:35], v[16:17]
	v_mul_f64_e32 v[34:35], s[30:31], v[236:237]
	v_add_f64_e32 v[20:21], v[22:23], v[20:21]
	s_delay_alu instid0(VALU_DEP_2) | instskip(NEXT) | instid1(VALU_DEP_1)
	v_fma_f64 v[36:37], v[208:209], s[8:9], -v[34:35]
	v_add_f64_e32 v[18:19], v[36:37], v[18:19]
	v_mul_f64_e32 v[36:37], s[28:29], v[234:235]
	s_delay_alu instid0(VALU_DEP_1) | instskip(SKIP_1) | instid1(VALU_DEP_2)
	v_fma_f64 v[22:23], v[212:213], s[14:15], -v[36:37]
	v_fma_f64 v[38:39], v[212:213], s[14:15], v[36:37]
	v_add_f64_e32 v[20:21], v[22:23], v[20:21]
	v_fma_f64 v[22:23], v[224:225], s[16:17], v[24:25]
	v_fma_f64 v[24:25], v[218:219], s[12:13], v[26:27]
	s_delay_alu instid0(VALU_DEP_4) | instskip(SKIP_3) | instid1(VALU_DEP_3)
	v_add_f64_e32 v[16:17], v[38:39], v[16:17]
	v_mul_f64_e32 v[38:39], s[28:29], v[232:233]
	v_fma_f64 v[26:27], v[204:205], s[18:19], v[44:45]
	v_add_f64_e32 v[22:23], v[188:189], v[22:23]
	v_fma_f64 v[40:41], v[206:207], s[14:15], -v[38:39]
	s_delay_alu instid0(VALU_DEP_2) | instskip(SKIP_1) | instid1(VALU_DEP_3)
	v_add_f64_e32 v[22:23], v[24:25], v[22:23]
	v_fma_f64 v[24:25], v[214:215], s[2:3], v[30:31]
	v_add_f64_e32 v[40:41], v[40:41], v[18:19]
	v_fma_f64 v[18:19], v[210:211], s[18:19], v[42:43]
	s_delay_alu instid0(VALU_DEP_3) | instskip(SKIP_1) | instid1(VALU_DEP_3)
	v_add_f64_e32 v[22:23], v[24:25], v[22:23]
	v_fma_f64 v[24:25], v[208:209], s[8:9], v[34:35]
	v_add_f64_e32 v[18:19], v[18:19], v[16:17]
	v_fma_f64 v[16:17], v[204:205], s[18:19], -v[44:45]
	s_delay_alu instid0(VALU_DEP_3) | instskip(SKIP_1) | instid1(VALU_DEP_3)
	v_add_f64_e32 v[22:23], v[24:25], v[22:23]
	v_fma_f64 v[24:25], v[206:207], s[14:15], v[38:39]
	v_add_f64_e32 v[16:17], v[16:17], v[40:41]
	s_delay_alu instid0(VALU_DEP_2) | instskip(SKIP_1) | instid1(VALU_DEP_1)
	v_add_f64_e32 v[24:25], v[24:25], v[22:23]
	v_fma_f64 v[22:23], v[210:211], s[18:19], -v[42:43]
	v_add_f64_e32 v[22:23], v[22:23], v[20:21]
	s_delay_alu instid0(VALU_DEP_3) | instskip(SKIP_1) | instid1(VALU_DEP_1)
	v_add_f64_e32 v[20:21], v[26:27], v[24:25]
	v_mul_f64_e32 v[24:25], s[18:19], v[226:227]
	v_add_f64_e32 v[14:15], v[14:15], v[24:25]
	v_mul_f64_e32 v[24:25], s[18:19], v[224:225]
	s_delay_alu instid0(VALU_DEP_2) | instskip(NEXT) | instid1(VALU_DEP_2)
	v_add_f64_e32 v[14:15], v[190:191], v[14:15]
	v_add_f64_e64 v[10:11], v[24:25], -v[10:11]
	v_mul_f64_e32 v[24:25], s[16:17], v[222:223]
	s_delay_alu instid0(VALU_DEP_2) | instskip(NEXT) | instid1(VALU_DEP_2)
	v_add_f64_e32 v[10:11], v[188:189], v[10:11]
	v_add_f64_e32 v[2:3], v[2:3], v[24:25]
	v_mul_f64_e32 v[24:25], s[14:15], v[220:221]
	s_delay_alu instid0(VALU_DEP_2) | instskip(NEXT) | instid1(VALU_DEP_2)
	v_add_f64_e32 v[2:3], v[2:3], v[14:15]
	v_add_f64_e32 v[4:5], v[4:5], v[24:25]
	;; [unrolled: 4-line block ×4, first 2 shown]
	v_mul_f64_e32 v[8:9], s[14:15], v[214:215]
	v_mul_f64_e32 v[6:7], s[2:3], v[210:211]
	s_delay_alu instid0(VALU_DEP_3) | instskip(SKIP_1) | instid1(VALU_DEP_4)
	v_add_f64_e32 v[2:3], v[4:5], v[2:3]
	v_mul_f64_e32 v[4:5], s[16:17], v[218:219]
	v_add_f64_e64 v[0:1], v[8:9], -v[0:1]
	v_mul_f64_e32 v[8:9], s[12:13], v[208:209]
	v_add_f64_e32 v[6:7], v[12:13], v[6:7]
	s_delay_alu instid0(VALU_DEP_4) | instskip(NEXT) | instid1(VALU_DEP_3)
	v_add_f64_e64 v[4:5], v[4:5], -v[253:254]
	v_add_f64_e64 v[8:9], v[8:9], -v[198:199]
	s_delay_alu instid0(VALU_DEP_3) | instskip(NEXT) | instid1(VALU_DEP_3)
	v_add_f64_e32 v[2:3], v[6:7], v[2:3]
	v_add_f64_e32 v[4:5], v[4:5], v[10:11]
	s_delay_alu instid0(VALU_DEP_1) | instskip(SKIP_1) | instid1(VALU_DEP_2)
	v_add_f64_e32 v[0:1], v[0:1], v[4:5]
	v_mul_f64_e32 v[4:5], s[8:9], v[206:207]
	v_add_f64_e32 v[0:1], v[8:9], v[0:1]
	s_delay_alu instid0(VALU_DEP_2) | instskip(SKIP_1) | instid1(VALU_DEP_2)
	v_add_f64_e64 v[4:5], v[4:5], -v[194:195]
	v_mul_f64_e32 v[8:9], s[2:3], v[204:205]
	v_add_f64_e32 v[0:1], v[4:5], v[0:1]
	s_clause 0x1
	scratch_load_b32 v4, off, off offset:4
	scratch_load_b32 v5, off, off offset:256 th:TH_LOAD_LU
	v_add_f64_e64 v[8:9], v[8:9], -v[196:197]
	s_delay_alu instid0(VALU_DEP_1)
	v_add_f64_e32 v[0:1], v[8:9], v[0:1]
	s_wait_loadcnt 0x0
	v_lshl_add_u32 v4, v5, 4, v4
	ds_store_b128 v4, v[20:23] offset:32
	ds_store_b128 v4, v[184:187] offset:48
	;; [unrolled: 1-line block ×4, first 2 shown]
	ds_store_b128 v4, v[144:147]
	ds_store_b128 v4, v[152:155] offset:16
	ds_store_b128 v4, v[160:163] offset:96
	;; [unrolled: 1-line block ×8, first 2 shown]
.LBB0_17:
	s_wait_alu 0xfffe
	s_or_b32 exec_lo, exec_lo, s1
	global_wb scope:SCOPE_SE
	s_wait_dscnt 0x0
	s_barrier_signal -1
	s_barrier_wait -1
	global_inv scope:SCOPE_SE
	ds_load_b128 v[164:167], v255
	ds_load_b128 v[160:163], v255 offset:624
	ds_load_b128 v[188:191], v255 offset:2912
	;; [unrolled: 1-line block ×11, first 2 shown]
	s_and_saveexec_b32 s1, s0
	s_cbranch_execz .LBB0_19
; %bb.18:
	ds_load_b128 v[148:151], v255 offset:2496
	ds_load_b128 v[144:147], v255 offset:5408
	;; [unrolled: 1-line block ×3, first 2 shown]
.LBB0_19:
	s_wait_alu 0xfffe
	s_or_b32 exec_lo, exec_lo, s1
	scratch_load_b128 v[32:35], off, off offset:220 th:TH_LOAD_LU ; 16-byte Folded Reload
	s_wait_dscnt 0x7
	v_mul_f64_e32 v[2:3], v[66:67], v[198:199]
	v_mul_f64_e32 v[6:7], v[66:67], v[196:197]
	;; [unrolled: 1-line block ×3, first 2 shown]
	s_wait_dscnt 0x6
	v_mul_f64_e32 v[10:11], v[74:75], v[182:183]
	v_mul_f64_e32 v[12:13], v[70:71], v[172:173]
	;; [unrolled: 1-line block ×3, first 2 shown]
	s_wait_dscnt 0x3
	v_mul_f64_e32 v[16:17], v[78:79], v[194:195]
	s_wait_dscnt 0x1
	v_mul_f64_e32 v[18:19], v[82:83], v[202:203]
	v_mul_f64_e32 v[20:21], v[78:79], v[192:193]
	;; [unrolled: 1-line block ×4, first 2 shown]
	s_wait_dscnt 0x0
	v_mul_f64_e32 v[26:27], v[90:91], v[186:187]
	v_mul_f64_e32 v[28:29], v[86:87], v[176:177]
	v_mul_f64_e32 v[30:31], v[90:91], v[184:185]
	s_mov_b32 s2, 0xe8584caa
	s_mov_b32 s3, 0xbfebb67a
	;; [unrolled: 1-line block ×3, first 2 shown]
	s_wait_alu 0xfffe
	s_mov_b32 s8, s2
	global_wb scope:SCOPE_SE
	s_wait_loadcnt 0x0
	s_barrier_signal -1
	s_barrier_wait -1
	global_inv scope:SCOPE_SE
	v_fma_f64 v[2:3], v[64:65], v[196:197], v[2:3]
	v_fma_f64 v[6:7], v[64:65], v[198:199], -v[6:7]
	v_fma_f64 v[8:9], v[68:69], v[172:173], v[8:9]
	v_fma_f64 v[10:11], v[72:73], v[180:181], v[10:11]
	v_fma_f64 v[12:13], v[68:69], v[174:175], -v[12:13]
	v_fma_f64 v[14:15], v[72:73], v[182:183], -v[14:15]
	v_fma_f64 v[16:17], v[76:77], v[192:193], v[16:17]
	v_fma_f64 v[18:19], v[80:81], v[200:201], v[18:19]
	v_fma_f64 v[20:21], v[76:77], v[194:195], -v[20:21]
	;; [unrolled: 4-line block ×3, first 2 shown]
	v_fma_f64 v[30:31], v[88:89], v[186:187], -v[30:31]
	v_add_f64_e32 v[53:54], v[160:161], v[8:9]
	v_add_f64_e32 v[36:37], v[8:9], v[10:11]
	v_add_f64_e32 v[55:56], v[162:163], v[12:13]
	v_add_f64_e32 v[38:39], v[12:13], v[14:15]
	v_add_f64_e32 v[57:58], v[168:169], v[16:17]
	v_add_f64_e32 v[40:41], v[16:17], v[18:19]
	v_add_f64_e32 v[59:60], v[170:171], v[20:21]
	v_add_f64_e32 v[42:43], v[20:21], v[22:23]
	v_add_f64_e32 v[61:62], v[156:157], v[24:25]
	v_add_f64_e32 v[44:45], v[24:25], v[26:27]
	v_add_f64_e32 v[63:64], v[158:159], v[28:29]
	v_add_f64_e32 v[47:48], v[28:29], v[30:31]
	v_add_f64_e64 v[65:66], v[12:13], -v[14:15]
	v_add_f64_e64 v[67:68], v[8:9], -v[10:11]
	;; [unrolled: 1-line block ×6, first 2 shown]
	v_fma_f64 v[36:37], v[36:37], -0.5, v[160:161]
	v_add_f64_e32 v[8:9], v[55:56], v[14:15]
	v_fma_f64 v[38:39], v[38:39], -0.5, v[162:163]
	v_fma_f64 v[40:41], v[40:41], -0.5, v[168:169]
	v_add_f64_e32 v[12:13], v[59:60], v[22:23]
	v_fma_f64 v[42:43], v[42:43], -0.5, v[170:171]
	v_add_f64_e32 v[14:15], v[61:62], v[26:27]
	v_fma_f64 v[44:45], v[44:45], -0.5, v[156:157]
	v_add_f64_e32 v[16:17], v[63:64], v[30:31]
	v_fma_f64 v[47:48], v[47:48], -0.5, v[158:159]
	v_fma_f64 v[26:27], v[65:66], s[2:3], v[36:37]
	s_wait_alu 0xfffe
	v_fma_f64 v[30:31], v[65:66], s[8:9], v[36:37]
	v_fma_f64 v[28:29], v[67:68], s[8:9], v[38:39]
	;; [unrolled: 1-line block ×5, first 2 shown]
	v_mul_f64_e32 v[0:1], v[34:35], v[190:191]
	v_mul_f64_e32 v[4:5], v[34:35], v[188:189]
	s_delay_alu instid0(VALU_DEP_2) | instskip(NEXT) | instid1(VALU_DEP_2)
	v_fma_f64 v[0:1], v[32:33], v[188:189], v[0:1]
	v_fma_f64 v[4:5], v[32:33], v[190:191], -v[4:5]
	s_delay_alu instid0(VALU_DEP_2) | instskip(NEXT) | instid1(VALU_DEP_2)
	v_add_f64_e32 v[32:33], v[0:1], v[2:3]
	v_add_f64_e32 v[34:35], v[4:5], v[6:7]
	;; [unrolled: 1-line block ×3, first 2 shown]
	v_add_f64_e64 v[51:52], v[4:5], -v[6:7]
	v_add_f64_e32 v[4:5], v[166:167], v[4:5]
	v_add_f64_e64 v[0:1], v[0:1], -v[2:3]
	v_fma_f64 v[32:33], v[32:33], -0.5, v[164:165]
	v_fma_f64 v[34:35], v[34:35], -0.5, v[166:167]
	v_add_f64_e32 v[2:3], v[49:50], v[2:3]
	v_add_f64_e32 v[4:5], v[4:5], v[6:7]
	;; [unrolled: 1-line block ×4, first 2 shown]
	v_fma_f64 v[18:19], v[51:52], s[2:3], v[32:33]
	v_fma_f64 v[22:23], v[51:52], s[8:9], v[32:33]
	;; [unrolled: 1-line block ×10, first 2 shown]
	scratch_load_b32 v47, off, off offset:252 th:TH_LOAD_LU ; 4-byte Folded Reload
	v_add_nc_u32_e32 v1, 0xc30, v255
	v_add_nc_u32_e32 v0, 0xea0, v255
	s_wait_loadcnt 0x0
	ds_store_b128 v47, v[2:5]
	ds_store_b128 v47, v[18:21] offset:208
	ds_store_b128 v47, v[22:25] offset:416
	scratch_load_b32 v2, off, off offset:248 th:TH_LOAD_LU ; 4-byte Folded Reload
	s_wait_loadcnt 0x0
	ds_store_b128 v2, v[6:9]
	ds_store_b128 v2, v[26:29] offset:208
	ds_store_b128 v2, v[30:33] offset:416
	scratch_load_b32 v2, off, off offset:244 th:TH_LOAD_LU ; 4-byte Folded Reload
	s_wait_loadcnt 0x0
	ds_store_b128 v2, v[10:13]
	ds_store_b128 v2, v[34:37] offset:208
	ds_store_b128 v2, v[38:41] offset:416
	scratch_load_b32 v2, off, off offset:240 th:TH_LOAD_LU ; 4-byte Folded Reload
	s_wait_loadcnt 0x0
	ds_store_b128 v2, v[14:17]
	ds_store_b128 v2, v[42:45] offset:208
	ds_store_b128 v2, v[60:63] offset:416
	s_mov_b32 s1, exec_lo
	scratch_load_b32 v22, off, off offset:4 ; 4-byte Folded Reload
	s_wait_alu 0xfffe
	s_and_b32 s0, s1, s0
	s_wait_alu 0xfffe
	s_mov_b32 exec_lo, s0
	s_cbranch_execz .LBB0_21
; %bb.20:
	s_clause 0x1
	scratch_load_b128 v[10:13], off, off offset:260 th:TH_LOAD_LU
	scratch_load_b128 v[14:17], off, off offset:276 th:TH_LOAD_LU
	s_wait_loadcnt 0x1
	v_mul_f64_e32 v[2:3], v[12:13], v[144:145]
	s_wait_loadcnt 0x0
	v_mul_f64_e32 v[4:5], v[16:17], v[152:153]
	v_mul_f64_e32 v[6:7], v[12:13], v[146:147]
	;; [unrolled: 1-line block ×3, first 2 shown]
	s_delay_alu instid0(VALU_DEP_4) | instskip(NEXT) | instid1(VALU_DEP_4)
	v_fma_f64 v[2:3], v[10:11], v[146:147], -v[2:3]
	v_fma_f64 v[4:5], v[14:15], v[154:155], -v[4:5]
	s_delay_alu instid0(VALU_DEP_4) | instskip(NEXT) | instid1(VALU_DEP_4)
	v_fma_f64 v[6:7], v[10:11], v[144:145], v[6:7]
	v_fma_f64 v[8:9], v[14:15], v[152:153], v[8:9]
	s_delay_alu instid0(VALU_DEP_4) | instskip(NEXT) | instid1(VALU_DEP_4)
	v_add_f64_e32 v[16:17], v[150:151], v[2:3]
	v_add_f64_e32 v[10:11], v[2:3], v[4:5]
	v_add_f64_e64 v[18:19], v[2:3], -v[4:5]
	s_delay_alu instid0(VALU_DEP_4)
	v_add_f64_e32 v[12:13], v[6:7], v[8:9]
	v_add_f64_e64 v[14:15], v[6:7], -v[8:9]
	v_add_f64_e32 v[6:7], v[148:149], v[6:7]
	v_add_f64_e32 v[4:5], v[16:17], v[4:5]
	v_fma_f64 v[10:11], v[10:11], -0.5, v[150:151]
	v_fma_f64 v[20:21], v[12:13], -0.5, v[148:149]
	s_delay_alu instid0(VALU_DEP_4) | instskip(NEXT) | instid1(VALU_DEP_3)
	v_add_f64_e32 v[2:3], v[6:7], v[8:9]
	v_fma_f64 v[8:9], v[14:15], s[2:3], v[10:11]
	v_fma_f64 v[12:13], v[14:15], s[8:9], v[10:11]
	s_clause 0x1
	scratch_load_b32 v14, off, off offset:236 th:TH_LOAD_LU
	scratch_load_b32 v15, off, off offset:216 th:TH_LOAD_LU
	v_fma_f64 v[10:11], v[18:19], s[2:3], v[20:21]
	v_fma_f64 v[6:7], v[18:19], s[8:9], v[20:21]
	s_wait_loadcnt 0x1
	v_mul_u32_u24_e32 v14, 39, v14
	s_wait_loadcnt 0x0
	s_delay_alu instid0(VALU_DEP_1) | instskip(NEXT) | instid1(VALU_DEP_1)
	v_add_nc_u32_e32 v14, v14, v15
	v_lshl_add_u32 v14, v14, 4, v22
	ds_store_b128 v14, v[2:5]
	ds_store_b128 v14, v[10:13] offset:208
	ds_store_b128 v14, v[6:9] offset:416
.LBB0_21:
	s_or_b32 exec_lo, exec_lo, s1
	global_wb scope:SCOPE_SE
	s_wait_loadcnt_dscnt 0x0
	s_barrier_signal -1
	s_barrier_wait -1
	global_inv scope:SCOPE_SE
	ds_load_b128 v[2:5], v255 offset:1248
	ds_load_b128 v[6:9], v255 offset:2496
	;; [unrolled: 1-line block ×12, first 2 shown]
	s_mov_b32 s0, 0x37e14327
	s_mov_b32 s2, 0x36b3c0b5
	s_mov_b32 s8, 0xe976ee23
	s_mov_b32 s1, 0x3fe948f6
	s_mov_b32 s3, 0x3fac98ee
	s_mov_b32 s9, 0x3fe11646
	s_mov_b32 s12, 0x429ad128
	s_mov_b32 s13, 0xbfebfeb5
	s_mov_b32 s14, 0xaaaaaaaa
	s_wait_dscnt 0xb
	v_mul_f64_e32 v[47:48], v[98:99], v[4:5]
	v_mul_f64_e32 v[49:50], v[98:99], v[2:3]
	s_wait_dscnt 0xa
	v_mul_f64_e32 v[56:57], v[94:95], v[8:9]
	v_mul_f64_e32 v[58:59], v[94:95], v[6:7]
	;; [unrolled: 3-line block ×9, first 2 shown]
	v_mul_f64_e32 v[88:89], v[114:115], v[36:37]
	v_mul_f64_e32 v[90:91], v[114:115], v[34:35]
	s_mov_b32 s16, 0xb247c609
	s_mov_b32 s15, 0xbff2aaaa
	;; [unrolled: 1-line block ×4, first 2 shown]
	s_wait_alu 0xfffe
	s_mov_b32 s18, s16
	v_fma_f64 v[2:3], v[96:97], v[2:3], v[47:48]
	v_fma_f64 v[4:5], v[96:97], v[4:5], -v[49:50]
	v_fma_f64 v[6:7], v[92:93], v[6:7], v[56:57]
	v_fma_f64 v[8:9], v[92:93], v[8:9], -v[58:59]
	;; [unrolled: 2-line block ×4, first 2 shown]
	s_wait_dscnt 0x1
	v_mul_f64_e32 v[47:48], v[110:111], v[44:45]
	v_mul_f64_e32 v[49:50], v[110:111], v[42:43]
	s_wait_dscnt 0x0
	v_mul_f64_e32 v[56:57], v[114:115], v[54:55]
	v_mul_f64_e32 v[58:59], v[114:115], v[52:53]
	v_fma_f64 v[18:19], v[96:97], v[18:19], v[68:69]
	v_fma_f64 v[20:21], v[96:97], v[20:21], -v[70:71]
	v_fma_f64 v[22:23], v[92:93], v[22:23], v[72:73]
	v_fma_f64 v[24:25], v[92:93], v[24:25], -v[74:75]
	;; [unrolled: 2-line block ×6, first 2 shown]
	v_add_f64_e32 v[60:61], v[2:3], v[10:11]
	v_add_f64_e32 v[62:63], v[4:5], v[12:13]
	;; [unrolled: 1-line block ×4, first 2 shown]
	v_fma_f64 v[42:43], v[108:109], v[42:43], v[47:48]
	v_fma_f64 v[44:45], v[108:109], v[44:45], -v[49:50]
	v_fma_f64 v[47:48], v[112:113], v[52:53], v[56:57]
	v_fma_f64 v[49:50], v[112:113], v[54:55], -v[58:59]
	v_add_f64_e64 v[14:15], v[6:7], -v[14:15]
	v_add_f64_e64 v[16:17], v[8:9], -v[16:17]
	;; [unrolled: 1-line block ×4, first 2 shown]
	v_add_f64_e32 v[51:52], v[18:19], v[26:27]
	v_add_f64_e32 v[53:54], v[20:21], v[28:29]
	;; [unrolled: 1-line block ×4, first 2 shown]
	v_add_f64_e64 v[22:23], v[22:23], -v[30:31]
	v_add_f64_e64 v[24:25], v[24:25], -v[32:33]
	v_add_f64_e32 v[68:69], v[38:39], v[34:35]
	v_add_f64_e32 v[70:71], v[40:41], v[36:37]
	v_add_f64_e64 v[34:35], v[34:35], -v[38:39]
	v_add_f64_e64 v[36:37], v[36:37], -v[40:41]
	;; [unrolled: 1-line block ×4, first 2 shown]
	ds_load_b128 v[2:5], v255
	ds_load_b128 v[6:9], v255 offset:624
	global_wb scope:SCOPE_SE
	s_wait_dscnt 0x0
	s_barrier_signal -1
	s_barrier_wait -1
	global_inv scope:SCOPE_SE
	v_add_f64_e32 v[38:39], v[64:65], v[60:61]
	v_add_f64_e32 v[40:41], v[66:67], v[62:63]
	;; [unrolled: 1-line block ×4, first 2 shown]
	v_add_f64_e64 v[42:43], v[47:48], -v[42:43]
	v_add_f64_e64 v[44:45], v[49:50], -v[44:45]
	;; [unrolled: 1-line block ×4, first 2 shown]
	v_add_f64_e32 v[26:27], v[55:56], v[51:52]
	v_add_f64_e32 v[28:29], v[57:58], v[53:54]
	v_add_f64_e64 v[47:48], v[60:61], -v[68:69]
	v_add_f64_e64 v[49:50], v[62:63], -v[70:71]
	;; [unrolled: 1-line block ×10, first 2 shown]
	v_add_f64_e32 v[14:15], v[34:35], v[14:15]
	v_add_f64_e32 v[16:17], v[36:37], v[16:17]
	v_add_f64_e64 v[34:35], v[10:11], -v[34:35]
	v_add_f64_e64 v[36:37], v[12:13], -v[36:37]
	v_add_f64_e32 v[38:39], v[68:69], v[38:39]
	v_add_f64_e32 v[40:41], v[70:71], v[40:41]
	v_add_f64_e64 v[68:69], v[51:52], -v[30:31]
	v_add_f64_e64 v[70:71], v[53:54], -v[32:33]
	;; [unrolled: 1-line block ×4, first 2 shown]
	v_add_f64_e32 v[22:23], v[42:43], v[22:23]
	v_add_f64_e32 v[24:25], v[44:45], v[24:25]
	v_mul_f64_e32 v[92:93], s[12:13], v[80:81]
	v_mul_f64_e32 v[94:95], s[12:13], v[82:83]
	v_add_f64_e32 v[26:27], v[30:31], v[26:27]
	v_add_f64_e32 v[28:29], v[32:33], v[28:29]
	v_add_f64_e64 v[30:31], v[30:31], -v[55:56]
	v_add_f64_e64 v[32:33], v[32:33], -v[57:58]
	v_mul_f64_e32 v[47:48], s[0:1], v[47:48]
	v_mul_f64_e32 v[49:50], s[0:1], v[49:50]
	;; [unrolled: 1-line block ×6, first 2 shown]
	v_add_f64_e64 v[42:43], v[18:19], -v[42:43]
	v_add_f64_e64 v[44:45], v[20:21], -v[44:45]
	v_mul_f64_e32 v[96:97], s[12:13], v[88:89]
	v_mul_f64_e32 v[98:99], s[12:13], v[90:91]
	v_add_f64_e64 v[51:52], v[55:56], -v[51:52]
	v_add_f64_e64 v[53:54], v[57:58], -v[53:54]
	v_add_f64_e32 v[10:11], v[14:15], v[10:11]
	v_add_f64_e32 v[12:13], v[16:17], v[12:13]
	;; [unrolled: 1-line block ×4, first 2 shown]
	v_mul_f64_e32 v[67:68], s[0:1], v[68:69]
	v_mul_f64_e32 v[69:70], s[0:1], v[70:71]
	;; [unrolled: 1-line block ×4, first 2 shown]
	s_mov_b32 s0, 0x5476071b
	s_mov_b32 s1, 0x3fe77f67
	;; [unrolled: 1-line block ×3, first 2 shown]
	s_wait_alu 0xfffe
	s_mov_b32 s8, s0
	v_add_f64_e32 v[6:7], v[6:7], v[26:27]
	v_add_f64_e32 v[8:9], v[8:9], v[28:29]
	v_mul_f64_e32 v[55:56], s[2:3], v[30:31]
	v_mul_f64_e32 v[57:58], s[2:3], v[32:33]
	v_add_f64_e32 v[14:15], v[22:23], v[18:19]
	v_add_f64_e32 v[16:17], v[24:25], v[20:21]
	v_fma_f64 v[18:19], v[72:73], s[2:3], v[47:48]
	v_fma_f64 v[20:21], v[74:75], s[2:3], v[49:50]
	v_fma_f64 v[22:23], v[59:60], s[0:1], -v[63:64]
	v_fma_f64 v[24:25], v[61:62], s[0:1], -v[65:66]
	v_fma_f64 v[63:64], v[34:35], s[16:17], v[76:77]
	v_fma_f64 v[65:66], v[36:37], s[16:17], v[78:79]
	v_fma_f64 v[71:72], v[80:81], s[12:13], -v[76:77]
	v_fma_f64 v[73:74], v[82:83], s[12:13], -v[78:79]
	;; [unrolled: 1-line block ×4, first 2 shown]
	s_wait_alu 0xfffe
	v_fma_f64 v[47:48], v[59:60], s[8:9], -v[47:48]
	v_fma_f64 v[49:50], v[61:62], s[8:9], -v[49:50]
	v_fma_f64 v[38:39], v[38:39], s[14:15], v[2:3]
	v_fma_f64 v[40:41], v[40:41], s[14:15], v[4:5]
	;; [unrolled: 1-line block ×6, first 2 shown]
	v_fma_f64 v[42:43], v[42:43], s[18:19], -v[96:97]
	v_fma_f64 v[44:45], v[44:45], s[18:19], -v[98:99]
	v_fma_f64 v[67:68], v[51:52], s[8:9], -v[67:68]
	v_fma_f64 v[69:70], v[53:54], s[8:9], -v[69:70]
	v_fma_f64 v[26:27], v[26:27], s[14:15], v[6:7]
	v_fma_f64 v[28:29], v[28:29], s[14:15], v[8:9]
	v_fma_f64 v[75:76], v[88:89], s[12:13], -v[84:85]
	v_fma_f64 v[77:78], v[90:91], s[12:13], -v[86:87]
	;; [unrolled: 1-line block ×4, first 2 shown]
	s_mov_b32 s0, 0x37c3f68c
	s_mov_b32 s1, 0xbfdc38aa
	s_wait_alu 0xfffe
	v_fma_f64 v[55:56], v[10:11], s[0:1], v[63:64]
	v_fma_f64 v[57:58], v[12:13], s[0:1], v[65:66]
	;; [unrolled: 1-line block ×6, first 2 shown]
	v_add_f64_e32 v[71:72], v[18:19], v[38:39]
	v_add_f64_e32 v[73:74], v[20:21], v[40:41]
	;; [unrolled: 1-line block ×6, first 2 shown]
	v_fma_f64 v[79:80], v[14:15], s[0:1], v[59:60]
	v_fma_f64 v[60:61], v[16:17], s[0:1], v[61:62]
	;; [unrolled: 1-line block ×4, first 2 shown]
	v_add_f64_e32 v[85:86], v[30:31], v[26:27]
	v_add_f64_e32 v[87:88], v[32:33], v[28:29]
	;; [unrolled: 1-line block ×4, first 2 shown]
	v_fma_f64 v[75:76], v[14:15], s[0:1], v[75:76]
	v_fma_f64 v[77:78], v[16:17], s[0:1], v[77:78]
	v_add_f64_e32 v[51:52], v[51:52], v[26:27]
	v_add_f64_e32 v[89:90], v[53:54], v[28:29]
	s_mul_u64 s[0:1], s[4:5], 42
	s_wait_alu 0xfffe
	s_lshl_b64 s[2:3], s[0:1], 4
	v_add_f64_e32 v[10:11], v[57:58], v[71:72]
	v_add_f64_e64 v[12:13], v[73:74], -v[55:56]
	v_add_f64_e32 v[14:15], v[36:37], v[47:48]
	v_add_f64_e64 v[16:17], v[49:50], -v[34:35]
	v_add_f64_e64 v[18:19], v[22:23], -v[65:66]
	v_add_f64_e32 v[20:21], v[63:64], v[24:25]
	v_add_f64_e32 v[22:23], v[65:66], v[22:23]
	v_add_f64_e64 v[24:25], v[24:25], -v[63:64]
	v_add_f64_e64 v[26:27], v[47:48], -v[36:37]
	v_add_f64_e32 v[28:29], v[34:35], v[49:50]
	v_add_f64_e64 v[30:31], v[71:72], -v[57:58]
	v_add_f64_e32 v[32:33], v[55:56], v[73:74]
	v_add_f64_e32 v[34:35], v[60:61], v[85:86]
	v_add_f64_e64 v[36:37], v[87:88], -v[79:80]
	v_add_f64_e32 v[38:39], v[83:84], v[67:68]
	v_add_f64_e64 v[40:41], v[69:70], -v[81:82]
	v_add_f64_e64 v[56:57], v[67:68], -v[83:84]
	v_add_f64_e32 v[58:59], v[81:82], v[69:70]
	v_add_f64_e64 v[42:43], v[51:52], -v[77:78]
	v_add_f64_e32 v[44:45], v[75:76], v[89:90]
	v_add_f64_e32 v[52:53], v[77:78], v[51:52]
	v_add_f64_e64 v[54:55], v[89:90], -v[75:76]
	v_add_f64_e64 v[60:61], v[85:86], -v[60:61]
	v_add_f64_e32 v[62:63], v[79:80], v[87:88]
	ds_store_b128 v255, v[2:5]
	ds_store_b128 v255, v[10:13] offset:624
	ds_store_b128 v255, v[14:17] offset:1248
	;; [unrolled: 1-line block ×13, first 2 shown]
	global_wb scope:SCOPE_SE
	s_wait_dscnt 0x0
	s_barrier_signal -1
	s_barrier_wait -1
	global_inv scope:SCOPE_SE
	ds_load_b128 v[2:5], v255 offset:4368
	ds_load_b128 v[6:9], v255 offset:4992
	;; [unrolled: 1-line block ×8, first 2 shown]
	s_wait_dscnt 0x7
	v_mul_f64_e32 v[34:35], v[122:123], v[4:5]
	v_mul_f64_e32 v[36:37], v[122:123], v[2:3]
	s_wait_dscnt 0x6
	v_mul_f64_e32 v[38:39], v[118:119], v[8:9]
	v_mul_f64_e32 v[40:41], v[118:119], v[6:7]
	;; [unrolled: 3-line block ×3, first 2 shown]
	v_mul_f64_e32 v[44:45], v[130:131], v[10:11]
	v_mul_f64_e32 v[47:48], v[126:127], v[16:17]
	;; [unrolled: 1-line block ×4, first 2 shown]
	s_wait_dscnt 0x2
	v_mul_f64_e32 v[55:56], v[134:135], v[24:25]
	v_mul_f64_e32 v[57:58], v[134:135], v[22:23]
	s_wait_dscnt 0x1
	v_mul_f64_e32 v[59:60], v[142:143], v[28:29]
	v_mul_f64_e32 v[61:62], v[142:143], v[26:27]
	v_fma_f64 v[34:35], v[120:121], v[2:3], v[34:35]
	v_fma_f64 v[36:37], v[120:121], v[4:5], -v[36:37]
	v_fma_f64 v[38:39], v[116:117], v[6:7], v[38:39]
	v_fma_f64 v[40:41], v[116:117], v[8:9], -v[40:41]
	v_fma_f64 v[51:52], v[136:137], v[18:19], v[51:52]
	v_fma_f64 v[42:43], v[128:129], v[10:11], v[42:43]
	v_fma_f64 v[44:45], v[128:129], v[12:13], -v[44:45]
	v_fma_f64 v[47:48], v[124:125], v[14:15], v[47:48]
	v_fma_f64 v[49:50], v[124:125], v[16:17], -v[49:50]
	v_fma_f64 v[63:64], v[136:137], v[20:21], -v[53:54]
	v_fma_f64 v[65:66], v[132:133], v[22:23], v[55:56]
	v_fma_f64 v[67:68], v[132:133], v[24:25], -v[57:58]
	ds_load_b128 v[2:5], v255
	ds_load_b128 v[6:9], v255 offset:624
	ds_load_b128 v[10:13], v255 offset:1248
	;; [unrolled: 1-line block ×5, first 2 shown]
	v_fma_f64 v[69:70], v[140:141], v[26:27], v[59:60]
	v_fma_f64 v[71:72], v[140:141], v[28:29], -v[61:62]
	s_wait_dscnt 0x5
	v_add_f64_e64 v[26:27], v[2:3], -v[34:35]
	v_add_f64_e64 v[28:29], v[4:5], -v[36:37]
	s_wait_dscnt 0x4
	v_add_f64_e64 v[34:35], v[6:7], -v[38:39]
	v_add_f64_e64 v[36:37], v[8:9], -v[40:41]
	s_wait_dscnt 0x1
	v_add_f64_e64 v[52:53], v[18:19], -v[51:52]
	scratch_load_b32 v51, off, off th:TH_LOAD_LU ; 4-byte Folded Reload
	v_add_f64_e64 v[38:39], v[10:11], -v[42:43]
	v_add_f64_e64 v[40:41], v[12:13], -v[44:45]
	v_add_f64_e64 v[42:43], v[14:15], -v[47:48]
	v_add_f64_e64 v[44:45], v[16:17], -v[49:50]
	v_add_f64_e64 v[54:55], v[20:21], -v[63:64]
	s_wait_dscnt 0x0
	v_add_f64_e64 v[56:57], v[22:23], -v[65:66]
	v_add_f64_e64 v[58:59], v[24:25], -v[67:68]
	;; [unrolled: 1-line block ×4, first 2 shown]
	v_mad_co_u64_u32 v[47:48], null, s6, v250, 0
	v_fma_f64 v[2:3], v[2:3], 2.0, -v[26:27]
	v_fma_f64 v[4:5], v[4:5], 2.0, -v[28:29]
	;; [unrolled: 1-line block ×14, first 2 shown]
	ds_store_b128 v255, v[2:5]
	ds_store_b128 v46, v[6:9] offset:624
	ds_store_b128 v46, v[10:13] offset:1248
	;; [unrolled: 1-line block ×13, first 2 shown]
	global_wb scope:SCOPE_SE
	s_wait_loadcnt_dscnt 0x0
	s_barrier_signal -1
	s_barrier_wait -1
	global_inv scope:SCOPE_SE
	ds_load_b128 v[0:3], v255
	ds_load_b128 v[4:7], v255 offset:672
	ds_load_b128 v[8:11], v255 offset:1344
	;; [unrolled: 1-line block ×6, first 2 shown]
	v_mad_co_u64_u32 v[49:50], null, s4, v51, 0
	s_delay_alu instid0(VALU_DEP_1) | instskip(NEXT) | instid1(VALU_DEP_2)
	v_mad_co_u64_u32 v[64:65], null, s7, v250, v[48:49]
	v_mad_co_u64_u32 v[50:51], null, s5, v51, v[50:51]
	s_mov_b32 s6, 0x1e01e01e
	s_mov_b32 s7, 0x3f5e01e0
	s_delay_alu instid0(VALU_DEP_2) | instskip(NEXT) | instid1(VALU_DEP_2)
	v_mov_b32_e32 v48, v64
	v_lshlrev_b64_e32 v[49:50], 4, v[49:50]
	s_delay_alu instid0(VALU_DEP_2) | instskip(NEXT) | instid1(VALU_DEP_1)
	v_lshlrev_b64_e32 v[47:48], 4, v[47:48]
	v_add_co_u32 v28, s0, s10, v47
	s_wait_alu 0xf1ff
	s_delay_alu instid0(VALU_DEP_2) | instskip(NEXT) | instid1(VALU_DEP_2)
	v_add_co_ci_u32_e64 v29, s0, s11, v48, s0
	v_add_co_u32 v60, s0, v28, v49
	s_wait_alu 0xf1ff
	s_delay_alu instid0(VALU_DEP_2)
	v_add_co_ci_u32_e64 v61, s0, v29, v50, s0
	ds_load_b128 v[28:31], v255 offset:4704
	ds_load_b128 v[32:35], v255 offset:5376
	;; [unrolled: 1-line block ×6, first 2 shown]
	s_clause 0x1
	scratch_load_b128 v[114:117], off, off offset:8 th:TH_LOAD_LU
	scratch_load_b128 v[138:141], off, off offset:184 th:TH_LOAD_LU
	s_wait_alu 0xfffe
	v_add_co_u32 v108, s0, v60, s2
	s_wait_alu 0xf1ff
	v_add_co_ci_u32_e64 v109, s0, s3, v61, s0
	s_delay_alu instid0(VALU_DEP_2) | instskip(SKIP_1) | instid1(VALU_DEP_2)
	v_add_co_u32 v110, s0, v108, s2
	s_wait_alu 0xf1ff
	v_add_co_ci_u32_e64 v111, s0, s3, v109, s0
	s_delay_alu instid0(VALU_DEP_2) | instskip(SKIP_1) | instid1(VALU_DEP_2)
	v_add_co_u32 v112, s0, v110, s2
	s_wait_alu 0xf1ff
	v_add_co_ci_u32_e64 v113, s0, s3, v111, s0
	s_wait_loadcnt_dscnt 0x10c
	v_mul_f64_e32 v[44:45], v[116:117], v[2:3]
	v_mul_f64_e32 v[47:48], v[116:117], v[0:1]
	scratch_load_b128 v[116:119], off, off offset:24 th:TH_LOAD_LU ; 16-byte Folded Reload
	s_wait_loadcnt_dscnt 0x102
	v_mul_f64_e32 v[96:97], v[140:141], v[42:43]
	v_mul_f64_e32 v[98:99], v[140:141], v[40:41]
	scratch_load_b128 v[140:143], off, off offset:200 th:TH_LOAD_LU ; 16-byte Folded Reload
	v_fma_f64 v[0:1], v[114:115], v[0:1], v[44:45]
	v_fma_f64 v[44:45], v[114:115], v[2:3], -v[47:48]
	s_delay_alu instid0(VALU_DEP_2)
	v_mul_f64_e32 v[2:3], s[6:7], v[0:1]
	s_wait_loadcnt 0x1
	v_mul_f64_e32 v[49:50], v[118:119], v[6:7]
	v_mul_f64_e32 v[62:63], v[118:119], v[4:5]
	scratch_load_b128 v[118:121], off, off offset:40 th:TH_LOAD_LU ; 16-byte Folded Reload
	s_wait_loadcnt_dscnt 0x100
	v_mul_f64_e32 v[104:105], v[142:143], v[58:59]
	v_mul_f64_e32 v[106:107], v[142:143], v[56:57]
	v_fma_f64 v[47:48], v[116:117], v[4:5], v[49:50]
	v_fma_f64 v[49:50], v[116:117], v[6:7], -v[62:63]
	v_mul_f64_e32 v[4:5], s[6:7], v[44:45]
	s_delay_alu instid0(VALU_DEP_3)
	v_mul_f64_e32 v[6:7], s[6:7], v[47:48]
	s_wait_loadcnt 0x0
	v_mul_f64_e32 v[64:65], v[120:121], v[10:11]
	v_mul_f64_e32 v[66:67], v[120:121], v[8:9]
	scratch_load_b128 v[120:123], off, off offset:56 th:TH_LOAD_LU ; 16-byte Folded Reload
	v_fma_f64 v[62:63], v[118:119], v[8:9], v[64:65]
	v_fma_f64 v[64:65], v[118:119], v[10:11], -v[66:67]
	v_mul_f64_e32 v[8:9], s[6:7], v[49:50]
	s_delay_alu instid0(VALU_DEP_3)
	v_mul_f64_e32 v[10:11], s[6:7], v[62:63]
	s_wait_loadcnt 0x0
	v_mul_f64_e32 v[68:69], v[122:123], v[14:15]
	v_mul_f64_e32 v[70:71], v[122:123], v[12:13]
	scratch_load_b128 v[122:125], off, off offset:72 th:TH_LOAD_LU ; 16-byte Folded Reload
	;; [unrolled: 9-line block ×8, first 2 shown]
	v_fma_f64 v[90:91], v[132:133], v[36:37], v[92:93]
	v_fma_f64 v[92:93], v[132:133], v[38:39], -v[94:95]
	v_fma_f64 v[94:95], v[138:139], v[40:41], v[96:97]
	v_fma_f64 v[96:97], v[138:139], v[42:43], -v[98:99]
	v_add_co_u32 v98, s0, v112, s2
	s_wait_alu 0xf1ff
	v_add_co_ci_u32_e64 v99, s0, s3, v113, s0
	v_mul_f64_e32 v[36:37], s[6:7], v[88:89]
	v_mul_f64_e32 v[38:39], s[6:7], v[90:91]
	;; [unrolled: 1-line block ×5, first 2 shown]
	s_wait_loadcnt 0x0
	v_mul_f64_e32 v[100:101], v[136:137], v[54:55]
	v_mul_f64_e32 v[102:103], v[136:137], v[52:53]
	s_delay_alu instid0(VALU_DEP_2) | instskip(NEXT) | instid1(VALU_DEP_2)
	v_fma_f64 v[51:52], v[134:135], v[52:53], v[100:101]
	v_fma_f64 v[53:54], v[134:135], v[54:55], -v[102:103]
	v_fma_f64 v[55:56], v[140:141], v[56:57], v[104:105]
	v_fma_f64 v[57:58], v[140:141], v[58:59], -v[106:107]
	v_add_co_u32 v100, s0, v98, s2
	s_wait_alu 0xf1ff
	v_add_co_ci_u32_e64 v101, s0, s3, v99, s0
	s_delay_alu instid0(VALU_DEP_2) | instskip(SKIP_1) | instid1(VALU_DEP_2)
	v_add_co_u32 v102, s0, v100, s2
	s_wait_alu 0xf1ff
	v_add_co_ci_u32_e64 v103, s0, s3, v101, s0
	v_mul_f64_e32 v[47:48], s[6:7], v[51:52]
	v_mul_f64_e32 v[49:50], s[6:7], v[53:54]
	;; [unrolled: 1-line block ×3, first 2 shown]
	v_add_co_u32 v55, s0, v102, s2
	s_wait_alu 0xf1ff
	v_add_co_ci_u32_e64 v56, s0, s3, v103, s0
	v_mul_f64_e32 v[53:54], s[6:7], v[57:58]
	s_delay_alu instid0(VALU_DEP_3) | instskip(SKIP_1) | instid1(VALU_DEP_3)
	v_add_co_u32 v57, s0, v55, s2
	s_wait_alu 0xf1ff
	v_add_co_ci_u32_e64 v58, s0, s3, v56, s0
	s_delay_alu instid0(VALU_DEP_2) | instskip(SKIP_1) | instid1(VALU_DEP_2)
	v_add_co_u32 v62, s0, v57, s2
	s_wait_alu 0xf1ff
	v_add_co_ci_u32_e64 v63, s0, s3, v58, s0
	s_delay_alu instid0(VALU_DEP_2) | instskip(SKIP_1) | instid1(VALU_DEP_2)
	;; [unrolled: 4-line block ×4, first 2 shown]
	v_add_co_u32 v0, s0, v66, s2
	s_wait_alu 0xf1ff
	v_add_co_ci_u32_e64 v1, s0, s3, v67, s0
	s_clause 0x4
	global_store_b128 v[60:61], v[2:5], off
	global_store_b128 v[108:109], v[6:9], off
	;; [unrolled: 1-line block ×13, first 2 shown]
	s_and_b32 exec_lo, exec_lo, vcc_lo
	s_cbranch_execz .LBB0_23
; %bb.22:
	global_load_b128 v[2:5], v[248:249], off offset:624
	ds_load_b128 v[6:9], v46 offset:624
	v_mad_co_u64_u32 v[12:13], null, 0xffffe2f0, s4, v[0:1]
	s_mul_i32 s0, s5, 0xffffe2f0
	s_wait_alu 0xfffe
	s_sub_co_i32 s0, s0, s4
	s_wait_alu 0xfffe
	s_delay_alu instid0(VALU_DEP_1) | instskip(SKIP_3) | instid1(VALU_DEP_2)
	v_add_nc_u32_e32 v13, s0, v13
	s_wait_loadcnt_dscnt 0x0
	v_mul_f64_e32 v[10:11], v[8:9], v[4:5]
	v_mul_f64_e32 v[4:5], v[6:7], v[4:5]
	v_fma_f64 v[6:7], v[6:7], v[2:3], v[10:11]
	s_delay_alu instid0(VALU_DEP_2) | instskip(NEXT) | instid1(VALU_DEP_2)
	v_fma_f64 v[4:5], v[2:3], v[8:9], -v[4:5]
	v_mul_f64_e32 v[2:3], s[6:7], v[6:7]
	s_delay_alu instid0(VALU_DEP_2)
	v_mul_f64_e32 v[4:5], s[6:7], v[4:5]
	global_store_b128 v[12:13], v[2:5], off
	global_load_b128 v[0:3], v[248:249], off offset:1296
	ds_load_b128 v[4:7], v255 offset:1296
	ds_load_b128 v[8:11], v255 offset:1968
	s_wait_loadcnt_dscnt 0x1
	v_mul_f64_e32 v[14:15], v[6:7], v[2:3]
	v_mul_f64_e32 v[2:3], v[4:5], v[2:3]
	s_delay_alu instid0(VALU_DEP_2) | instskip(NEXT) | instid1(VALU_DEP_2)
	v_fma_f64 v[4:5], v[4:5], v[0:1], v[14:15]
	v_fma_f64 v[2:3], v[0:1], v[6:7], -v[2:3]
	s_delay_alu instid0(VALU_DEP_2) | instskip(NEXT) | instid1(VALU_DEP_2)
	v_mul_f64_e32 v[0:1], s[6:7], v[4:5]
	v_mul_f64_e32 v[2:3], s[6:7], v[2:3]
	v_add_co_u32 v4, vcc_lo, v12, s2
	s_wait_alu 0xfffd
	v_add_co_ci_u32_e32 v5, vcc_lo, s3, v13, vcc_lo
	s_delay_alu instid0(VALU_DEP_2) | instskip(SKIP_1) | instid1(VALU_DEP_2)
	v_add_co_u32 v12, vcc_lo, v4, s2
	s_wait_alu 0xfffd
	v_add_co_ci_u32_e32 v13, vcc_lo, s3, v5, vcc_lo
	global_store_b128 v[4:5], v[0:3], off
	global_load_b128 v[0:3], v[248:249], off offset:1968
	s_wait_loadcnt_dscnt 0x0
	v_mul_f64_e32 v[6:7], v[10:11], v[2:3]
	v_mul_f64_e32 v[2:3], v[8:9], v[2:3]
	s_delay_alu instid0(VALU_DEP_2) | instskip(NEXT) | instid1(VALU_DEP_2)
	v_fma_f64 v[6:7], v[8:9], v[0:1], v[6:7]
	v_fma_f64 v[2:3], v[0:1], v[10:11], -v[2:3]
	s_delay_alu instid0(VALU_DEP_2) | instskip(NEXT) | instid1(VALU_DEP_2)
	v_mul_f64_e32 v[0:1], s[6:7], v[6:7]
	v_mul_f64_e32 v[2:3], s[6:7], v[2:3]
	global_store_b128 v[12:13], v[0:3], off
	global_load_b128 v[0:3], v[248:249], off offset:2640
	ds_load_b128 v[4:7], v255 offset:2640
	ds_load_b128 v[8:11], v255 offset:3312
	s_wait_loadcnt_dscnt 0x1
	v_mul_f64_e32 v[14:15], v[6:7], v[2:3]
	v_mul_f64_e32 v[2:3], v[4:5], v[2:3]
	s_delay_alu instid0(VALU_DEP_2) | instskip(NEXT) | instid1(VALU_DEP_2)
	v_fma_f64 v[4:5], v[4:5], v[0:1], v[14:15]
	v_fma_f64 v[2:3], v[0:1], v[6:7], -v[2:3]
	s_delay_alu instid0(VALU_DEP_2) | instskip(NEXT) | instid1(VALU_DEP_2)
	v_mul_f64_e32 v[0:1], s[6:7], v[4:5]
	v_mul_f64_e32 v[2:3], s[6:7], v[2:3]
	v_add_co_u32 v4, vcc_lo, v12, s2
	s_wait_alu 0xfffd
	v_add_co_ci_u32_e32 v5, vcc_lo, s3, v13, vcc_lo
	s_delay_alu instid0(VALU_DEP_2) | instskip(SKIP_1) | instid1(VALU_DEP_2)
	v_add_co_u32 v12, vcc_lo, v4, s2
	s_wait_alu 0xfffd
	v_add_co_ci_u32_e32 v13, vcc_lo, s3, v5, vcc_lo
	global_store_b128 v[4:5], v[0:3], off
	global_load_b128 v[0:3], v[248:249], off offset:3312
	s_wait_loadcnt_dscnt 0x0
	v_mul_f64_e32 v[6:7], v[10:11], v[2:3]
	v_mul_f64_e32 v[2:3], v[8:9], v[2:3]
	s_delay_alu instid0(VALU_DEP_2) | instskip(NEXT) | instid1(VALU_DEP_2)
	v_fma_f64 v[6:7], v[8:9], v[0:1], v[6:7]
	v_fma_f64 v[2:3], v[0:1], v[10:11], -v[2:3]
	s_delay_alu instid0(VALU_DEP_2) | instskip(NEXT) | instid1(VALU_DEP_2)
	v_mul_f64_e32 v[0:1], s[6:7], v[6:7]
	;; [unrolled: 31-line block ×5, first 2 shown]
	v_mul_f64_e32 v[2:3], s[6:7], v[2:3]
	global_store_b128 v[12:13], v[0:3], off
	global_load_b128 v[0:3], v[248:249], off offset:8016
	ds_load_b128 v[4:7], v255 offset:8016
	ds_load_b128 v[8:11], v255 offset:8688
	s_wait_loadcnt_dscnt 0x1
	v_mul_f64_e32 v[14:15], v[6:7], v[2:3]
	v_mul_f64_e32 v[2:3], v[4:5], v[2:3]
	s_delay_alu instid0(VALU_DEP_2) | instskip(NEXT) | instid1(VALU_DEP_2)
	v_fma_f64 v[4:5], v[4:5], v[0:1], v[14:15]
	v_fma_f64 v[2:3], v[0:1], v[6:7], -v[2:3]
	s_delay_alu instid0(VALU_DEP_2) | instskip(NEXT) | instid1(VALU_DEP_2)
	v_mul_f64_e32 v[0:1], s[6:7], v[4:5]
	v_mul_f64_e32 v[2:3], s[6:7], v[2:3]
	v_add_co_u32 v4, vcc_lo, v12, s2
	s_wait_alu 0xfffd
	v_add_co_ci_u32_e32 v5, vcc_lo, s3, v13, vcc_lo
	global_store_b128 v[4:5], v[0:3], off
	global_load_b128 v[0:3], v[248:249], off offset:8688
	v_add_co_u32 v4, vcc_lo, v4, s2
	s_wait_alu 0xfffd
	v_add_co_ci_u32_e32 v5, vcc_lo, s3, v5, vcc_lo
	s_wait_loadcnt_dscnt 0x0
	v_mul_f64_e32 v[6:7], v[10:11], v[2:3]
	v_mul_f64_e32 v[2:3], v[8:9], v[2:3]
	s_delay_alu instid0(VALU_DEP_2) | instskip(NEXT) | instid1(VALU_DEP_2)
	v_fma_f64 v[6:7], v[8:9], v[0:1], v[6:7]
	v_fma_f64 v[2:3], v[0:1], v[10:11], -v[2:3]
	s_delay_alu instid0(VALU_DEP_2) | instskip(NEXT) | instid1(VALU_DEP_2)
	v_mul_f64_e32 v[0:1], s[6:7], v[6:7]
	v_mul_f64_e32 v[2:3], s[6:7], v[2:3]
	global_store_b128 v[4:5], v[0:3], off
.LBB0_23:
	s_nop 0
	s_sendmsg sendmsg(MSG_DEALLOC_VGPRS)
	s_endpgm
	.section	.rodata,"a",@progbits
	.p2align	6, 0x0
	.amdhsa_kernel bluestein_single_fwd_len546_dim1_dp_op_CI_CI
		.amdhsa_group_segment_fixed_size 26208
		.amdhsa_private_segment_fixed_size 296
		.amdhsa_kernarg_size 104
		.amdhsa_user_sgpr_count 2
		.amdhsa_user_sgpr_dispatch_ptr 0
		.amdhsa_user_sgpr_queue_ptr 0
		.amdhsa_user_sgpr_kernarg_segment_ptr 1
		.amdhsa_user_sgpr_dispatch_id 0
		.amdhsa_user_sgpr_private_segment_size 0
		.amdhsa_wavefront_size32 1
		.amdhsa_uses_dynamic_stack 0
		.amdhsa_enable_private_segment 1
		.amdhsa_system_sgpr_workgroup_id_x 1
		.amdhsa_system_sgpr_workgroup_id_y 0
		.amdhsa_system_sgpr_workgroup_id_z 0
		.amdhsa_system_sgpr_workgroup_info 0
		.amdhsa_system_vgpr_workitem_id 0
		.amdhsa_next_free_vgpr 256
		.amdhsa_next_free_sgpr 46
		.amdhsa_reserve_vcc 1
		.amdhsa_float_round_mode_32 0
		.amdhsa_float_round_mode_16_64 0
		.amdhsa_float_denorm_mode_32 3
		.amdhsa_float_denorm_mode_16_64 3
		.amdhsa_fp16_overflow 0
		.amdhsa_workgroup_processor_mode 1
		.amdhsa_memory_ordered 1
		.amdhsa_forward_progress 0
		.amdhsa_round_robin_scheduling 0
		.amdhsa_exception_fp_ieee_invalid_op 0
		.amdhsa_exception_fp_denorm_src 0
		.amdhsa_exception_fp_ieee_div_zero 0
		.amdhsa_exception_fp_ieee_overflow 0
		.amdhsa_exception_fp_ieee_underflow 0
		.amdhsa_exception_fp_ieee_inexact 0
		.amdhsa_exception_int_div_zero 0
	.end_amdhsa_kernel
	.text
.Lfunc_end0:
	.size	bluestein_single_fwd_len546_dim1_dp_op_CI_CI, .Lfunc_end0-bluestein_single_fwd_len546_dim1_dp_op_CI_CI
                                        ; -- End function
	.section	.AMDGPU.csdata,"",@progbits
; Kernel info:
; codeLenInByte = 27692
; NumSgprs: 48
; NumVgprs: 256
; ScratchSize: 296
; MemoryBound: 0
; FloatMode: 240
; IeeeMode: 1
; LDSByteSize: 26208 bytes/workgroup (compile time only)
; SGPRBlocks: 5
; VGPRBlocks: 31
; NumSGPRsForWavesPerEU: 48
; NumVGPRsForWavesPerEU: 256
; Occupancy: 5
; WaveLimiterHint : 1
; COMPUTE_PGM_RSRC2:SCRATCH_EN: 1
; COMPUTE_PGM_RSRC2:USER_SGPR: 2
; COMPUTE_PGM_RSRC2:TRAP_HANDLER: 0
; COMPUTE_PGM_RSRC2:TGID_X_EN: 1
; COMPUTE_PGM_RSRC2:TGID_Y_EN: 0
; COMPUTE_PGM_RSRC2:TGID_Z_EN: 0
; COMPUTE_PGM_RSRC2:TIDIG_COMP_CNT: 0
	.text
	.p2alignl 7, 3214868480
	.fill 96, 4, 3214868480
	.type	__hip_cuid_3d37b9b321b8fcd3,@object ; @__hip_cuid_3d37b9b321b8fcd3
	.section	.bss,"aw",@nobits
	.globl	__hip_cuid_3d37b9b321b8fcd3
__hip_cuid_3d37b9b321b8fcd3:
	.byte	0                               ; 0x0
	.size	__hip_cuid_3d37b9b321b8fcd3, 1

	.ident	"AMD clang version 19.0.0git (https://github.com/RadeonOpenCompute/llvm-project roc-6.4.0 25133 c7fe45cf4b819c5991fe208aaa96edf142730f1d)"
	.section	".note.GNU-stack","",@progbits
	.addrsig
	.addrsig_sym __hip_cuid_3d37b9b321b8fcd3
	.amdgpu_metadata
---
amdhsa.kernels:
  - .args:
      - .actual_access:  read_only
        .address_space:  global
        .offset:         0
        .size:           8
        .value_kind:     global_buffer
      - .actual_access:  read_only
        .address_space:  global
        .offset:         8
        .size:           8
        .value_kind:     global_buffer
      - .actual_access:  read_only
        .address_space:  global
        .offset:         16
        .size:           8
        .value_kind:     global_buffer
      - .actual_access:  read_only
        .address_space:  global
        .offset:         24
        .size:           8
        .value_kind:     global_buffer
      - .actual_access:  read_only
        .address_space:  global
        .offset:         32
        .size:           8
        .value_kind:     global_buffer
      - .offset:         40
        .size:           8
        .value_kind:     by_value
      - .address_space:  global
        .offset:         48
        .size:           8
        .value_kind:     global_buffer
      - .address_space:  global
        .offset:         56
        .size:           8
        .value_kind:     global_buffer
      - .address_space:  global
        .offset:         64
        .size:           8
        .value_kind:     global_buffer
      - .address_space:  global
        .offset:         72
        .size:           8
        .value_kind:     global_buffer
      - .offset:         80
        .size:           4
        .value_kind:     by_value
      - .address_space:  global
        .offset:         88
        .size:           8
        .value_kind:     global_buffer
      - .address_space:  global
        .offset:         96
        .size:           8
        .value_kind:     global_buffer
    .group_segment_fixed_size: 26208
    .kernarg_segment_align: 8
    .kernarg_segment_size: 104
    .language:       OpenCL C
    .language_version:
      - 2
      - 0
    .max_flat_workgroup_size: 117
    .name:           bluestein_single_fwd_len546_dim1_dp_op_CI_CI
    .private_segment_fixed_size: 296
    .sgpr_count:     48
    .sgpr_spill_count: 0
    .symbol:         bluestein_single_fwd_len546_dim1_dp_op_CI_CI.kd
    .uniform_work_group_size: 1
    .uses_dynamic_stack: false
    .vgpr_count:     256
    .vgpr_spill_count: 73
    .wavefront_size: 32
    .workgroup_processor_mode: 1
amdhsa.target:   amdgcn-amd-amdhsa--gfx1201
amdhsa.version:
  - 1
  - 2
...

	.end_amdgpu_metadata
